;; amdgpu-corpus repo=ROCm/Tensile kind=harvested arch=n/a opt=n/a

/******************************************/
/* Function Prefix                        */
/******************************************/



/******************************************/
/* Begin Kernel                           */
/******************************************/

// Component.Signature.SignatureDefault
.amdgcn_target "amdgcn-amd-amdhsa--gfx942"
.text
.protected Cijk_Ailk_Bjlk_DB_MT128x64x16_MI16x16x4x1_SN_1LDSB0_APM1_AF0EM1_AF1EM1_AMAS3_ASE_ASGT_ASLT_ASM_ASAE01_ASCE01_ASEM1_BL0_BS0_CLR0_DTVA1_DTVB0_ETSP_EPS1_ELFLR0_EMLL0_FSSC10_FL0_GLVWA2_GLVWB2_GRCGA1_GRPM1_GRVW2_GSU1_GSUASB_GLS0_IU1_K1_LBSPPA0_LBSPPB0_LPA0_LPB0_LRVW1_LWPMn1_MIAV1_MKFGSU256_NTA0_NTB0_NTC3_NTD3_NEPBS4_NLCA1_NLCB1_ONLL1_PGR2_PLR1_PKA0_SIA3_SLW1_SS1_SU0_SUM0_SUS0_SPO1_SRVW0_SSO8_SVW2_TSGRA0_TSGRB0_TT2_64_TLDS0_UMLDSA0_UMLDSB0_USFGROn1_VAW1_VSn1_VW2_VWB1_VFLRP0_WSGRA0_WSGRB0_WG64_4_1_WGM30
.globl Cijk_Ailk_Bjlk_DB_MT128x64x16_MI16x16x4x1_SN_1LDSB0_APM1_AF0EM1_AF1EM1_AMAS3_ASE_ASGT_ASLT_ASM_ASAE01_ASCE01_ASEM1_BL0_BS0_CLR0_DTVA1_DTVB0_ETSP_EPS1_ELFLR0_EMLL0_FSSC10_FL0_GLVWA2_GLVWB2_GRCGA1_GRPM1_GRVW2_GSU1_GSUASB_GLS0_IU1_K1_LBSPPA0_LBSPPB0_LPA0_LPB0_LRVW1_LWPMn1_MIAV1_MKFGSU256_NTA0_NTB0_NTC3_NTD3_NEPBS4_NLCA1_NLCB1_ONLL1_PGR2_PLR1_PKA0_SIA3_SLW1_SS1_SU0_SUM0_SUS0_SPO1_SRVW0_SSO8_SVW2_TSGRA0_TSGRB0_TT2_64_TLDS0_UMLDSA0_UMLDSB0_USFGROn1_VAW1_VSn1_VW2_VWB1_VFLRP0_WSGRA0_WSGRB0_WG64_4_1_WGM30
.p2align 8
.type Cijk_Ailk_Bjlk_DB_MT128x64x16_MI16x16x4x1_SN_1LDSB0_APM1_AF0EM1_AF1EM1_AMAS3_ASE_ASGT_ASLT_ASM_ASAE01_ASCE01_ASEM1_BL0_BS0_CLR0_DTVA1_DTVB0_ETSP_EPS1_ELFLR0_EMLL0_FSSC10_FL0_GLVWA2_GLVWB2_GRCGA1_GRPM1_GRVW2_GSU1_GSUASB_GLS0_IU1_K1_LBSPPA0_LBSPPB0_LPA0_LPB0_LRVW1_LWPMn1_MIAV1_MKFGSU256_NTA0_NTB0_NTC3_NTD3_NEPBS4_NLCA1_NLCB1_ONLL1_PGR2_PLR1_PKA0_SIA3_SLW1_SS1_SU0_SUM0_SUS0_SPO1_SRVW0_SSO8_SVW2_TSGRA0_TSGRB0_TT2_64_TLDS0_UMLDSA0_UMLDSB0_USFGROn1_VAW1_VSn1_VW2_VWB1_VFLRP0_WSGRA0_WSGRB0_WG64_4_1_WGM30,@function
.section .rodata,#alloc
.p2align 6
.amdhsa_kernel Cijk_Ailk_Bjlk_DB_MT128x64x16_MI16x16x4x1_SN_1LDSB0_APM1_AF0EM1_AF1EM1_AMAS3_ASE_ASGT_ASLT_ASM_ASAE01_ASCE01_ASEM1_BL0_BS0_CLR0_DTVA1_DTVB0_ETSP_EPS1_ELFLR0_EMLL0_FSSC10_FL0_GLVWA2_GLVWB2_GRCGA1_GRPM1_GRVW2_GSU1_GSUASB_GLS0_IU1_K1_LBSPPA0_LBSPPB0_LPA0_LPB0_LRVW1_LWPMn1_MIAV1_MKFGSU256_NTA0_NTB0_NTC3_NTD3_NEPBS4_NLCA1_NLCB1_ONLL1_PGR2_PLR1_PKA0_SIA3_SLW1_SS1_SU0_SUM0_SUS0_SPO1_SRVW0_SSO8_SVW2_TSGRA0_TSGRB0_TT2_64_TLDS0_UMLDSA0_UMLDSB0_USFGROn1_VAW1_VSn1_VW2_VWB1_VFLRP0_WSGRA0_WSGRB0_WG64_4_1_WGM30
  .amdhsa_user_sgpr_kernarg_segment_ptr 1
  .amdhsa_user_sgpr_kernarg_preload_offset 0
  .amdhsa_user_sgpr_kernarg_preload_length 0
  .amdhsa_user_sgpr_count 2
  .amdhsa_accum_offset 168 // accvgpr offset
  .amdhsa_next_free_vgpr 168 // vgprs
  .amdhsa_next_free_sgpr 50 // sgprs
  .amdhsa_group_segment_fixed_size 16384 // lds bytes
  .amdhsa_private_segment_fixed_size 0
  .amdhsa_system_sgpr_workgroup_id_x 1
  .amdhsa_system_sgpr_workgroup_id_y 1
  .amdhsa_system_sgpr_workgroup_id_z 1
  .amdhsa_system_vgpr_workitem_id 0
  .amdhsa_float_denorm_mode_32 3
  .amdhsa_float_denorm_mode_16_64 3
.end_amdhsa_kernel
.text

/******************************************/
/* Optimizations and Config:              */
/******************************************/
/* ThreadTile= 8 x 4 */
/* SubGroup= 16 x 16 */
/* VectorWidthA=2 */
/* VectorWidthB=1 */
/* GlobalLoadVectorWidthA=2, GlobalLoadVectorWidthB=2 */
/* DirectToLdsA=False */
/* DirectToLdsB=False */
/* UseSgprForGRO=False */
.amdgpu_metadata
---
amdhsa.version:
  - 1
  - 1
amdhsa.target: amdgcn-amd-amdhsa--gfx942
amdhsa.kernels:
  - .name: Cijk_Ailk_Bjlk_DB_MT128x64x16_MI16x16x4x1_SN_1LDSB0_APM1_AF0EM1_AF1EM1_AMAS3_ASE_ASGT_ASLT_ASM_ASAE01_ASCE01_ASEM1_BL0_BS0_CLR0_DTVA1_DTVB0_ETSP_EPS1_ELFLR0_EMLL0_FSSC10_FL0_GLVWA2_GLVWB2_GRCGA1_GRPM1_GRVW2_GSU1_GSUASB_GLS0_IU1_K1_LBSPPA0_LBSPPB0_LPA0_LPB0_LRVW1_LWPMn1_MIAV1_MKFGSU256_NTA0_NTB0_NTC3_NTD3_NEPBS4_NLCA1_NLCB1_ONLL1_PGR2_PLR1_PKA0_SIA3_SLW1_SS1_SU0_SUM0_SUS0_SPO1_SRVW0_SSO8_SVW2_TSGRA0_TSGRB0_TT2_64_TLDS0_UMLDSA0_UMLDSB0_USFGROn1_VAW1_VSn1_VW2_VWB1_VFLRP0_WSGRA0_WSGRB0_WG64_4_1_WGM30
    .symbol: 'Cijk_Ailk_Bjlk_DB_MT128x64x16_MI16x16x4x1_SN_1LDSB0_APM1_AF0EM1_AF1EM1_AMAS3_ASE_ASGT_ASLT_ASM_ASAE01_ASCE01_ASEM1_BL0_BS0_CLR0_DTVA1_DTVB0_ETSP_EPS1_ELFLR0_EMLL0_FSSC10_FL0_GLVWA2_GLVWB2_GRCGA1_GRPM1_GRVW2_GSU1_GSUASB_GLS0_IU1_K1_LBSPPA0_LBSPPB0_LPA0_LPB0_LRVW1_LWPMn1_MIAV1_MKFGSU256_NTA0_NTB0_NTC3_NTD3_NEPBS4_NLCA1_NLCB1_ONLL1_PGR2_PLR1_PKA0_SIA3_SLW1_SS1_SU0_SUM0_SUS0_SPO1_SRVW0_SSO8_SVW2_TSGRA0_TSGRB0_TT2_64_TLDS0_UMLDSA0_UMLDSB0_USFGROn1_VAW1_VSn1_VW2_VWB1_VFLRP0_WSGRA0_WSGRB0_WG64_4_1_WGM30.kd'
    .language:                   OpenCL C
    .language_version:
      - 2
      - 0
    .args:
      - .name:            Tensor2dSizeA
        .size:            8
        .offset:          0
        .value_kind:      by_value
        .value_type:      u64
      - .name:            Tensor2dSizeB
        .size:            8
        .offset:          8
        .value_kind:      by_value
        .value_type:      u64
      - .name:            AddressD
        .size:            8
        .offset:          16
        .value_kind:      by_value
        .value_type:      u64
      - .name:            AddressC
        .size:            8
        .offset:          24
        .value_kind:      by_value
        .value_type:      u64
      - .name:            AddressA
        .size:            8
        .offset:          32
        .value_kind:      by_value
        .value_type:      u64
      - .name:            AddressB
        .size:            8
        .offset:          40
        .value_kind:      by_value
        .value_type:      u64
      - .name:            Alpha
        .size:            8
        .offset:          48
        .value_kind:      by_value
        .value_type:      u64
      - .name:            Beta
        .size:            8
        .offset:          56
        .value_kind:      by_value
        .value_type:      u64
      - .name:            StridesD
        .size:            8
        .offset:          64
        .value_kind:      by_value
        .value_type:      u64
      - .name:            StridesC
        .size:            8
        .offset:          72
        .value_kind:      by_value
        .value_type:      u64
      - .name:            StridesA
        .size:            8
        .offset:          80
        .value_kind:      by_value
        .value_type:      u64
      - .name:            StridesB
        .size:            8
        .offset:          88
        .value_kind:      by_value
        .value_type:      u64
      - .name:            SizesFree
        .size:            12
        .offset:          96
        .value_kind:      by_value
        .value_type:      u96
      - .name:            SizesSum
        .size:            4
        .offset:          108
        .value_kind:      by_value
        .value_type:      u32
      - .name:            NumWorkGroups0
        .size:            4
        .offset:          112
        .value_kind:      by_value
        .value_type:      u32
      - .name:            NumWorkGroups1
        .size:            4
        .offset:          116
        .value_kind:      by_value
        .value_type:      u32
      - .name:            NumFullBlocks
        .size:            4
        .offset:          120
        .value_kind:      by_value
        .value_type:      u32
      - .name:            WgmRemainder1
        .size:            4
        .offset:          124
        .value_kind:      by_value
        .value_type:      u32
      - .name:            MagicNumberWgmRemainder1
        .size:            4
        .offset:          128
        .value_kind:      by_value
        .value_type:      u32
    .group_segment_fixed_size:   16384
    .kernarg_segment_align:      8
    .kernarg_segment_size:       136
    .max_flat_workgroup_size:    256
    .private_segment_fixed_size: 0
    .sgpr_count:                 50
    .sgpr_spill_count:           0
    .vgpr_count:                 168
    .vgpr_spill_count:           0
    .wavefront_size:             64
...
.end_amdgpu_metadata
Cijk_Ailk_Bjlk_DB_MT128x64x16_MI16x16x4x1_SN_1LDSB0_APM1_AF0EM1_AF1EM1_AMAS3_ASE_ASGT_ASLT_ASM_ASAE01_ASCE01_ASEM1_BL0_BS0_CLR0_DTVA1_DTVB0_ETSP_EPS1_ELFLR0_EMLL0_FSSC10_FL0_GLVWA2_GLVWB2_GRCGA1_GRPM1_GRVW2_GSU1_GSUASB_GLS0_IU1_K1_LBSPPA0_LBSPPB0_LPA0_LPB0_LRVW1_LWPMn1_MIAV1_MKFGSU256_NTA0_NTB0_NTC3_NTD3_NEPBS4_NLCA1_NLCB1_ONLL1_PGR2_PLR1_PKA0_SIA3_SLW1_SS1_SU0_SUM0_SUS0_SPO1_SRVW0_SSO8_SVW2_TSGRA0_TSGRB0_TT2_64_TLDS0_UMLDSA0_UMLDSB0_USFGROn1_VAW1_VSn1_VW2_VWB1_VFLRP0_WSGRA0_WSGRB0_WG64_4_1_WGM30:

/******************************************/
/* Asm syntax workarounds                 */
/******************************************/
.macro _v_add_co_u32 dst:req, cc:req, src0:req, src1:req, dpp=
   v_add_co_u32 \dst, \cc, \src0, \src1 \dpp
.endm

.macro _v_add_u32 dst:req, src0:req, src1:req, dpp=
   v_add_u32 \dst, \src0, \src1 \dpp
.endm

.macro _v_add_i32 dst:req, src0:req, src1:req, dpp=
   v_add_i32 \dst, \src0, \src1 \dpp
.endm

.macro _v_addc_co_u32 dst:req, ccOut:req, src0:req, ccIn:req, src1:req, dpp=
   v_addc_co_u32 \dst, \ccOut, \src0, \ccIn, \src1 \dpp
.endm

.macro _v_sub_co_u32 dst:req, cc:req, src0:req, src1:req, dpp=
   v_sub_co_u32 \dst, \cc, \src0, \src1 \dpp
.endm

.macro _v_sub_u32 dst:req, src0:req, src1:req, dpp=
   v_sub_u32 \dst, \src0, \src1 \dpp
.endm

.macro _v_sub_i32 dst:req, src0:req, src1:req, dpp=
   v_sub_i32 \dst, \src0, \src1 \dpp
.endm

.macro _v_add_lshl_u32 dst:req, src0:req, src1:req, shiftCnt:req
    v_add_lshl_u32 \dst, \src0, \src1, \shiftCnt
.endm

.macro _v_lshl_add_u32 dst:req, src0:req, src1:req, shiftCnt:req
    v_lshl_add_u32 \dst, \src0, \src1, \shiftCnt
.endm

.macro _v_lshl_or_b32 dst:req, src0:req, shiftCnt:req, src1:req
    v_lshl_or_b32 \dst, \src0, \shiftCnt, \src1
.endm

.macro _v_dot2acc_f32_f16 dst, src0, src1
v_dot2c_f32_f16 \dst, \src0, \src1
.endm

.macro _v_cmpx_lt_i16 dst, src0, src1=
   v_cmpx_lt_i16 \dst, \src0, \src1 
.endm

.macro _v_cmpx_lt_i32 dst, src0, src1=
   v_cmpx_lt_i32 \dst, \src0, \src1 
.endm

.macro _v_cmpx_lt_i64 dst, src0, src1=
   v_cmpx_lt_i64 \dst, \src0, \src1 
.endm

.macro _v_cmpx_lt_u16 dst, src0, src1=
   v_cmpx_lt_u16 \dst, \src0, \src1 
.endm

.macro _v_cmpx_lt_u32 dst, src0, src1=
   v_cmpx_lt_u32 \dst, \src0, \src1 
.endm

.macro _v_cmpx_lt_u64 dst, src0, src1=
   v_cmpx_lt_u64 \dst, \src0, \src1 
.endm

.macro _v_cmpx_eq_i16 dst, src0, src1=
   v_cmpx_eq_i16 \dst, \src0, \src1 
.endm

.macro _v_cmpx_eq_i32 dst, src0, src1=
   v_cmpx_eq_i32 \dst, \src0, \src1 
.endm

.macro _v_cmpx_eq_i64 dst, src0, src1=
   v_cmpx_eq_i64 \dst, \src0, \src1 
.endm

.macro _v_cmpx_eq_u16 dst, src0, src1=
   v_cmpx_eq_u16 \dst, \src0, \src1 
.endm

.macro _v_cmpx_eq_u32 dst, src0, src1=
   v_cmpx_eq_u32 \dst, \src0, \src1 
.endm

.macro _v_cmpx_eq_u64 dst, src0, src1=
   v_cmpx_eq_u64 \dst, \src0, \src1 
.endm

.macro _v_cmpx_le_i16 dst, src0, src1=
   v_cmpx_le_i16 \dst, \src0, \src1 
.endm

.macro _v_cmpx_le_i32 dst, src0, src1=
   v_cmpx_le_i32 \dst, \src0, \src1 
.endm

.macro _v_cmpx_le_i64 dst, src0, src1=
   v_cmpx_le_i64 \dst, \src0, \src1 
.endm

.macro _v_cmpx_le_u16 dst, src0, src1=
   v_cmpx_le_u16 \dst, \src0, \src1 
.endm

.macro _v_cmpx_le_u32 dst, src0, src1=
   v_cmpx_le_u32 \dst, \src0, \src1 
.endm

.macro _v_cmpx_le_u64 dst, src0, src1=
   v_cmpx_le_u64 \dst, \src0, \src1 
.endm

.macro _v_cmpx_gt_i16 dst, src0, src1=
   v_cmpx_gt_i16 \dst, \src0, \src1 
.endm

.macro _v_cmpx_gt_i32 dst, src0, src1=
   v_cmpx_gt_i32 \dst, \src0, \src1 
.endm

.macro _v_cmpx_gt_i64 dst, src0, src1=
   v_cmpx_gt_i64 \dst, \src0, \src1 
.endm

.macro _v_cmpx_gt_u16 dst, src0, src1=
   v_cmpx_gt_u16 \dst, \src0, \src1 
.endm

.macro _v_cmpx_gt_u32 dst, src0, src1=
   v_cmpx_gt_u32 \dst, \src0, \src1 
.endm

.macro _v_cmpx_gt_u64 dst, src0, src1=
   v_cmpx_gt_u64 \dst, \src0, \src1 
.endm

.macro _v_cmpx_ne_i16 dst, src0, src1=
   v_cmpx_ne_i16 \dst, \src0, \src1 
.endm

.macro _v_cmpx_ne_i32 dst, src0, src1=
   v_cmpx_ne_i32 \dst, \src0, \src1 
.endm

.macro _v_cmpx_ne_i64 dst, src0, src1=
   v_cmpx_ne_i64 \dst, \src0, \src1 
.endm

.macro _v_cmpx_ne_u16 dst, src0, src1=
   v_cmpx_ne_u16 \dst, \src0, \src1 
.endm

.macro _v_cmpx_ne_u32 dst, src0, src1=
   v_cmpx_ne_u32 \dst, \src0, \src1 
.endm

.macro _v_cmpx_ne_u64 dst, src0, src1=
   v_cmpx_ne_u64 \dst, \src0, \src1 
.endm

.macro _v_cmpx_lg_i16 dst, src0, src1=
   v_cmpx_lg_i16 \dst, \src0, \src1 
.endm

.macro _v_cmpx_lg_i32 dst, src0, src1=
   v_cmpx_lg_i32 \dst, \src0, \src1 
.endm

.macro _v_cmpx_lg_i64 dst, src0, src1=
   v_cmpx_lg_i64 \dst, \src0, \src1 
.endm

.macro _v_cmpx_lg_u16 dst, src0, src1=
   v_cmpx_lg_u16 \dst, \src0, \src1 
.endm

.macro _v_cmpx_lg_u32 dst, src0, src1=
   v_cmpx_lg_u32 \dst, \src0, \src1 
.endm

.macro _v_cmpx_lg_u64 dst, src0, src1=
   v_cmpx_lg_u64 \dst, \src0, \src1 
.endm

.macro _v_cmpx_ge_i16 dst, src0, src1=
   v_cmpx_ge_i16 \dst, \src0, \src1 
.endm

.macro _v_cmpx_ge_i32 dst, src0, src1=
   v_cmpx_ge_i32 \dst, \src0, \src1 
.endm

.macro _v_cmpx_ge_i64 dst, src0, src1=
   v_cmpx_ge_i64 \dst, \src0, \src1 
.endm

.macro _v_cmpx_ge_u16 dst, src0, src1=
   v_cmpx_ge_u16 \dst, \src0, \src1 
.endm

.macro _v_cmpx_ge_u32 dst, src0, src1=
   v_cmpx_ge_u32 \dst, \src0, \src1 
.endm

.macro _v_cmpx_ge_u64 dst, src0, src1=
   v_cmpx_ge_u64 \dst, \src0, \src1 
.endm

.macro _v_cmpx_o_i16 dst, src0, src1=
   v_cmpx_o_i16 \dst, \src0, \src1 
.endm

.macro _v_cmpx_o_i32 dst, src0, src1=
   v_cmpx_o_i32 \dst, \src0, \src1 
.endm

.macro _v_cmpx_o_i64 dst, src0, src1=
   v_cmpx_o_i64 \dst, \src0, \src1 
.endm

.macro _v_cmpx_o_u16 dst, src0, src1=
   v_cmpx_o_u16 \dst, \src0, \src1 
.endm

.macro _v_cmpx_o_u32 dst, src0, src1=
   v_cmpx_o_u32 \dst, \src0, \src1 
.endm

.macro _v_cmpx_o_u64 dst, src0, src1=
   v_cmpx_o_u64 \dst, \src0, \src1 
.endm

.macro _v_cmpx_u_i16 dst, src0, src1=
   v_cmpx_u_i16 \dst, \src0, \src1 
.endm

.macro _v_cmpx_u_i32 dst, src0, src1=
   v_cmpx_u_i32 \dst, \src0, \src1 
.endm

.macro _v_cmpx_u_i64 dst, src0, src1=
   v_cmpx_u_i64 \dst, \src0, \src1 
.endm

.macro _v_cmpx_u_u16 dst, src0, src1=
   v_cmpx_u_u16 \dst, \src0, \src1 
.endm

.macro _v_cmpx_u_u32 dst, src0, src1=
   v_cmpx_u_u32 \dst, \src0, \src1 
.endm

.macro _v_cmpx_u_u64 dst, src0, src1=
   v_cmpx_u_u64 \dst, \src0, \src1 
.endm
.macro _v_mac_f32 c:req, a:req, b:req
    v_fmac_f32 \c, \a, \b
.endmacro

/* scale global load macros */
.macro _s_load_b32 dst base offset
    s_load_dword \dst \base \offset
.endm

.macro _s_load_b64 dst base offset
    s_load_dwordx2 \dst \base \offset
.endm

.macro _s_load_b128 dst base offset
    s_load_dwordx4 \dst \base \offset
.endm

.macro _s_load_b256 dst base offset
    s_load_dwordx8 \dst \base \offset
.endm

.macro _s_load_b512 dst base offset
    s_load_dwordx16 \dst \base \offset
.endm


/* ds operation macros */
.macro _ds_load_u8 dst src offset
    ds_read_u8 \dst \src \offset
.endm

.macro _ds_load_u8_d16_hi dst src offset
    ds_read_u8_d16_hi \dst \src \offset
.endm

.macro _ds_load_u16 dst src offset
    ds_read_u16 \dst \src \offset
.endm

.macro _ds_load_u16_d16_hi dst src offset
    ds_read_u16_d16_hi \dst \src \offset
.endm

.macro _ds_load_b32 dst src offset
    ds_read_b32 \dst \src \offset
.endm

.macro _ds_load_b64 dst src offset
    ds_read_b64 \dst \src \offset
.endm

.macro _ds_load_b128 dst src offset
    ds_read_b128 \dst \src \offset
.endm

.macro _ds_store_b8 dst src offset
    ds_write_b8 \dst \src \offset
.endm

.macro _ds_store_b8_d16_hi dst src offset
    ds_write_b8_d16_hi \dst \src \offset
.endm

.macro _ds_store_b16 dst src offset
    ds_write_b16 \dst \src \offset
.endm

.macro _ds_store_b16_d16_hi dst src offset
    ds_write_b16_d16_hi \dst \src \offset
.endm

.macro _ds_store_b32 dst src offset
    ds_write_b32 \dst \src \offset
.endm

.macro _ds_store_b64 dst src offset
    ds_write_b64 \dst \src \offset
.endm

.macro _ds_store_b128 dst src offset
    ds_write_b128 \dst \src \offset
.endm

.macro _ds_load2_b32 dst src offset1 offset2
    ds_read2_b32 \dst \src \offset1 \offset2
.endm

.macro _ds_load2_b64 dst src offset1 offset2
    ds_read2_b64 \dst \src \offset1 \offset2
.endm

.macro _ds_store2_b32 dst src offset1 offset2
    ds_write2_b32 \dst \src \offset1 \offset2
.endm

.macro _ds_store2_b64 dst src offset1 offset2
    ds_write2_b64 \dst \src \offset1 \offset2
.endm


/* buffer memory operation macros */
.macro _buffer_load_b32 dst voffset base soffset offen ioffset md0 md1 md2
    buffer_load_dword \dst \voffset \base \soffset \offen \ioffset \md0 \md1 \md2
.endm

.macro _buffer_load_b64 dst voffset base soffset offen ioffset md0 md1 md2
    buffer_load_dwordx2 \dst \voffset \base \soffset \offen \ioffset \md0 \md1 \md2
.endm

.macro _buffer_load_b96 dst voffset base soffset offen ioffset md0 md1 md2
    buffer_load_dwordx3 \dst \voffset \base \soffset \offen \ioffset \md0 \md1 \md2
.endm

.macro _buffer_load_b128 dst voffset base soffset offen ioffset md0 md1 md2
    buffer_load_dwordx4 \dst \voffset \base \soffset \offen \ioffset \md0 \md1 \md2
.endm

.macro _buffer_load_d16_b16 dst voffset base soffset offen ioffset md0 md1 md2
    buffer_load_short_d16 \dst \voffset \base \soffset \offen \ioffset \md0 \md1 \md2
.endm

.macro _buffer_load_d16_hi_b16 dst voffset base soffset offen ioffset md0 md1 md2
    buffer_load_short_d16_hi \dst \voffset \base \soffset \offen \ioffset \md0 \md1 \md2
.endm

.macro _buffer_load_d16_u8 dst voffset base soffset offen ioffset md0 md1 md2
    buffer_load_ubyte_d16 \dst \voffset \base \soffset \offen \ioffset \md0 \md1 \md2
.endm

.macro _buffer_load_d16_hi_u8 dst voffset base soffset offen ioffset md0 md1 md2
    buffer_load_ubyte_d16_hi \dst \voffset \base \soffset \offen \ioffset \md0 \md1 \md2
.endm

.macro _buffer_load_u16 dst voffset base soffset offen ioffset md0 md1 md2
    buffer_load_ushort \dst \voffset \base \soffset \offen \ioffset \md0 \md1 \md2
.endm

.macro _buffer_load_b32_dtl voffset base soffset offen ioffset md0 md1 md2
    buffer_load_dword \voffset \base \soffset \offen \ioffset \md0 \md1 \md2
.endm

.macro _buffer_load_b64_dtl voffset base soffset offen ioffset md0 md1 md2
    buffer_load_dwordx2 \voffset \base \soffset \offen \ioffset \md0 \md1 \md2
.endm

.macro _buffer_load_b128_dtl voffset base soffset offen ioffset md0 md1 md2
    buffer_load_dwordx4 \voffset \base \soffset \offen \ioffset \md0 \md1 \md2
.endm

.macro _buffer_load_u16_dtl voffset base soffset offen ioffset md0 md1 md2
    buffer_load_ushort \voffset \base \soffset \offen \ioffset \md0 \md1 \md2
.endm

.macro _buffer_store_b32 src voffset base soffset offen ioffset md0 md1 md2
    buffer_store_dword \src \voffset \base \soffset \offen \ioffset \md0 \md1 \md2
.endm

.macro _buffer_store_b64 src voffset base soffset offen ioffset md0 md1 md2
    buffer_store_dwordx2 \src \voffset \base \soffset \offen \ioffset \md0 \md1 \md2
.endm

.macro _buffer_store_b96 src voffset base soffset offen ioffset md0 md1 md2
    buffer_store_dwordx3 \src \voffset \base \soffset \offen \ioffset \md0 \md1 \md2
.endm

.macro _buffer_store_b128 src voffset base soffset offen ioffset md0 md1 md2
    buffer_store_dwordx4 \src \voffset \base \soffset \offen \ioffset \md0 \md1 \md2
.endm

.macro _buffer_store_b16 src voffset base soffset offen ioffset md0 md1 md2
    buffer_store_short \src \voffset \base \soffset \offen \ioffset \md0 \md1 \md2
.endm

.macro _buffer_store_d16_hi_b16 src voffset base soffset offen ioffset md0 md1 md2
    buffer_store_short_d16_hi \src \voffset \base \soffset \offen \ioffset \md0 \md1 \md2
.endm

.macro _buffer_store_b8 src voffset base soffset offen ioffset md0 md1 md2
    buffer_store_byte \src \voffset \base \soffset \offen \ioffset \md0 \md1 \md2
.endm

.macro _buffer_store_d16_hi_b8 src voffset base soffset offen ioffset md0 md1 md2
    buffer_store_byte_d16_hi \src \voffset \base \soffset \offen \ioffset \md0 \md1 \md2
.endm

.macro _buffer_atomic_cmpswap_b32 dst voffset base soffset offen ioffset md0 md1 md2
    buffer_atomic_cmpswap \dst \voffset \base \soffset \offen \ioffset \md0 \md1 \md2
.endm

.macro _buffer_atomic_cmpswap_b64 dst voffset base soffset offen ioffset md0 md1 md2
    buffer_atomic_cmpswap_x2 \dst \voffset \base \soffset \offen \ioffset \md0 \md1 \md2
.endm


/* buffer memory operation macros */
.macro _global_load_b32 dst base src ioffset md0 md1 md2
    global_load_dword \dst \base \src \ioffset \md0 \md1 \md2
.endm

.macro _global_load_b64 dst base src ioffset md0 md1 md2
    global_load_dwordx2 \dst \base \src \ioffset \md0 \md1 \md2
.endm

.macro _global_load_b96 dst base src ioffset md0 md1 md2
    global_load_dwordx3 \dst \base \src \ioffset \md0 \md1 \md2
.endm

.macro _global_load_b128 dst base src ioffset md0 md1 md2
    global_load_dwordx4 \dst \base \src \ioffset \md0 \md1 \md2
.endm

.macro _global_load_d16_b16 dst base src ioffset md0 md1 md2
    global_load_short_d16 \dst \base \src \ioffset \md0 \md1 \md2
.endm

.macro _global_load_d16_hi_b16 dst base src ioffset md0 md1 md2
    global_load_short_d16_hi \dst \base \src \ioffset \md0 \md1 \md2
.endm

.macro _global_load_d16_u8 dst base src ioffset md0 md1 md2
    global_load_ubyte_d16 \dst \base \src \ioffset \md0 \md1 \md2
.endm

.macro _global_load_d16_hi_u8 dst base src ioffset md0 md1 md2
    global_load_ubyte_d16_hi \dst \base \src \ioffset \md0 \md1 \md2
.endm

.macro _global_load_u16 dst base src ioffset md0 md1 md2
    global_load_ushort \dst \base \src \ioffset \md0 \md1 \md2
.endm

.macro _global_store_b32 base src src2 md0 md1 md2
    global_store_dword \base \src \src2 \md0 \md1 \md2
.endm

.macro _global_store_b64 base src src2 md0 md1 md2
    global_store_dwordx2 \base \src \src2 \md0 \md1 \md2
.endm

.macro _global_store_b96 base src src2 md0 md1 md2
    global_store_dwordx3 \base \src \src2 \md0 \md1 \md2
.endm

.macro _global_store_b128 base src src2 md0 md1 md2
    global_store_dwordx4 \base \src \src2 \md0 \md1 \md2
.endm

.macro _global_store_d16_b16 base src src2 md0 md1 md2
    global_store_short \base \src \src2 \md0 \md1 \md2
.endm

.macro _global_store_d16_hi_b16 base src src2 md0 md1 md2
    global_store_short_d16_hi \base \src \src2 \md0 \md1 \md2
.endm

.macro _global_store_d16_u8 base src src2 md0 md1 md2
    global_store_ubyte_d16 \base \src \src2 \md0 \md1 \md2
.endm

.macro _global_store_d16_hi_u8 base src src2 md0 md1 md2
    global_store_ubyte_d16_hi \base \src \src2 \md0 \md1 \md2
.endm

.macro _global_store_u16 base src src2 md0 md1 md2
    global_store_ushort \base \src \src2 \md0 \md1 \md2
.endm

.macro _global_atomic_cmpswap_b32 tmp base data src ioffset md
    global_atomic_cmpswap \tmp \base \data \src \ioffset \md
.endm

.macro _global_atomic_cmpswap_b64 tmp base data src ioffset md
    global_atomic_cmpswap_x2 \tmp \base \data \src \ioffset \md
.endm


/******************************************/
/* Magic div and mod functions            */
/******************************************/
.macro V_MAGIC_DIV dstIdx:req, dividend:req, magicNumber:req, magicShift:req, magicA:req
    v_mul_hi_u32 v[\dstIdx+1], \dividend, \magicNumber
    v_mul_lo_u32 v[\dstIdx+0], \dividend, \magicA
    _v_add_u32 v[\dstIdx+0], v[\dstIdx+0], v[\dstIdx+1]
    v_lshrrev_b32 v[\dstIdx+0], \magicShift, v[\dstIdx+0]
.endm

/******************************************/
/* VGPR Assignments                       */
/******************************************/
/* ValuC range: [0-64), serializedStore enabled */
.set vgprValuC, 0
/* ValuA/B   Xn=PLR buffer idx,  In=InnerUnroll idx */
.set vgprG2LA, 98
.set vgprG2LA0, 98
.set vgprG2LA1, 114
.set vgprValuB_X0_I0, 64
.set vgprValuB_X1_I0, 72
.set vgprG2LB, 130
.set vgprLocalWriteAddrB, 80
.set vgprGlobalReadAddrA, 82
.set vgprGlobalReadAddrB, 90
.set vgprGlobalReadIncsA, 94
.set vgprGlobalReadIncsB, 96
.set vgprLocalReadAddrB, 138
.set vgprSerial, 139
/* Num VGPR=168 */
/* Num AccVGPR=0 */

/******************************************/
/* SGPR Assignments                       */
/******************************************/
.set sgprKernArgAddress, 0 // (2)
.set sgprWorkGroup0, 2 // (1)
.set sgprWorkGroup1, 3 // (1)
.set sgprWorkGroup2, 4 // (1)
.set sgprLoopCounterL, 5 // (1)
.set sgprOrigLoopCounter, 6 // (1)
.set sgprTensor2dSizeA, 8 // (2)
.set sgprTensor2dSizeB, 10 // (2)
.set sgprAddressD, 12 // (2)
.set sgprAddressC, 14 // (2)
.set sgprAddressA, 16 // (2)
.set sgprAddressB, 18 // (2)
.set sgprAlpha, 20 // (2)
.set sgprBeta, 22 // (2)
.set sgprStridesD, 24 // (2)
.set sgprStridesC, 26 // (2)
.set sgprStridesA, 28 // (2)
.set sgprStridesB, 30 // (2)
.set sgprSizesFree, 32 // (3)
.set sgprSizesSum, 35 // (1)
.set sgprNumWorkGroups0, 36 // (1)
.set sgprNumWorkGroups1, 37 // (1)
.set sgprNumFullBlocks, 38 // (1)
.set sgprWgmRemainder1, 39 // (1)
.set sgprMagicNumberWgmRemainder1, 40 // (1)
/* max SGPR=50 */

/* Size Assignments */
.set sgprSizeI, sgprSizesFree+0
.set sgprSizeJ, sgprSizesFree+1
.set sgprSizeK, sgprSizesFree+2
.set sgprSizeL, sgprSizesSum+0

/* Stride Assignments */
.set constStrideD0I, 1
.set sgprStrideD1J, sgprStridesD+0
.set sgprStrideDK, sgprStridesD+1
.set constStrideC0I, 1
.set sgprStrideC1J, sgprStridesC+0
.set sgprStrideCK, sgprStridesC+1
.set constStrideA0I, 1
.set sgprStrideAL, sgprStridesA+0
.set sgprStrideAK, sgprStridesA+1
.set constStrideB1J, 1
.set sgprStrideBL, sgprStridesB+0
.set sgprStrideBK, sgprStridesB+1

.set MT0, 128
.set MT1, 64
.set DepthU, 16
.set GSU, 1
.set BpeA, 8
.set BpeALog2, 3
.set BpeB, 8
.set BpeBLog2, 3
/* Number of elements to shift-left SRD */
.set SrdShiftLeftA, 2
.set SrdShiftLeftB, 2

/* Global Offset D */
.macro GLOBAL_OFFSET_D vgprAddr:req vgprOffset0I:req vgprOffset1J:req sgprOffsetK:req vgprTmp:req
v_mul_lo_u32 v[\vgprTmp+0], s[sgprStrideD1J], v[\vgprOffset1J] // mul d1 lower
v_mul_hi_u32 v[\vgprTmp+1], s[sgprStrideD1J], v[\vgprOffset1J] // mul d1 upper
_v_add_co_u32 v[\vgprAddr+0], vcc, v[\vgprOffset0I], v[\vgprTmp+0] // accumulate K lower
_v_addc_co_u32 v[\vgprAddr+1], vcc, v[\vgprTmp+1], 0, vcc // accumulate K upper
v_mov_b32 v[\vgprTmp+2], s[\sgprOffsetK]           // sgprOffset -> vgprTmp+2
v_mul_lo_u32 v[\vgprTmp+0], s[sgprStrideDK], v[\vgprTmp+2] // other stride mul d2 lower
v_mul_hi_u32 v[\vgprTmp+1], s[sgprStrideDK], v[\vgprTmp+2] // mul d2 upper
_v_add_co_u32 v[\vgprAddr+0], vcc, v[\vgprAddr+0], v[\vgprTmp+0] // accumulate K lower
_v_addc_co_u32 v[\vgprAddr+1], vcc, v[\vgprTmp+1], v[\vgprAddr+1], vcc // accumulate K upper
v_lshlrev_b64 v[\vgprAddr+0:\vgprAddr+1], 0x3, v[\vgprAddr+0:\vgprAddr+1] // offset *= bytes/element
.endm

/* Global Offset C */
.macro GLOBAL_OFFSET_C vgprAddr:req vgprOffset0I:req vgprOffset1J:req sgprOffsetK:req vgprTmp:req
v_mul_lo_u32 v[\vgprTmp+0], s[sgprStrideC1J], v[\vgprOffset1J] // mul d1 lower
v_mul_hi_u32 v[\vgprTmp+1], s[sgprStrideC1J], v[\vgprOffset1J] // mul d1 upper
_v_add_co_u32 v[\vgprAddr+0], vcc, v[\vgprOffset0I], v[\vgprTmp+0] // accumulate K lower
_v_addc_co_u32 v[\vgprAddr+1], vcc, v[\vgprTmp+1], 0, vcc // accumulate K upper
v_mov_b32 v[\vgprTmp+2], s[\sgprOffsetK]           // sgprOffset -> vgprTmp+2
v_mul_lo_u32 v[\vgprTmp+0], s[sgprStrideCK], v[\vgprTmp+2] // other stride mul d2 lower
v_mul_hi_u32 v[\vgprTmp+1], s[sgprStrideCK], v[\vgprTmp+2] // mul d2 upper
_v_add_co_u32 v[\vgprAddr+0], vcc, v[\vgprAddr+0], v[\vgprTmp+0] // accumulate K lower
_v_addc_co_u32 v[\vgprAddr+1], vcc, v[\vgprTmp+1], v[\vgprAddr+1], vcc // accumulate K upper
v_lshlrev_b64 v[\vgprAddr+0:\vgprAddr+1], 0x3, v[\vgprAddr+0:\vgprAddr+1] // offset *= bytes/element
.endm

/* Global Offset A */
.macro GLOBAL_OFFSET_A vgprAddr:req vgprOffset0I:req vgprOffsetL:req sgprOffsetK:req vgprTmp:req
v_mul_lo_u32 v[\vgprTmp+0], s[sgprStrideAL], v[\vgprOffsetL] // mul d1 lower
v_mul_hi_u32 v[\vgprTmp+1], s[sgprStrideAL], v[\vgprOffsetL] // mul d1 upper
_v_add_co_u32 v[\vgprAddr+0], vcc, v[\vgprOffset0I], v[\vgprTmp+0] // accumulate K lower
_v_addc_co_u32 v[\vgprAddr+1], vcc, v[\vgprTmp+1], 0, vcc // accumulate K upper
v_mov_b32 v[\vgprTmp+2], s[\sgprOffsetK]           // sgprOffset -> vgprTmp+2
v_mul_lo_u32 v[\vgprTmp+0], s[sgprStrideAK], v[\vgprTmp+2] // other stride mul d2 lower
v_mul_hi_u32 v[\vgprTmp+1], s[sgprStrideAK], v[\vgprTmp+2] // mul d2 upper
_v_add_co_u32 v[\vgprAddr+0], vcc, v[\vgprAddr+0], v[\vgprTmp+0] // accumulate K lower
_v_addc_co_u32 v[\vgprAddr+1], vcc, v[\vgprTmp+1], v[\vgprAddr+1], vcc // accumulate K upper
v_lshlrev_b64 v[\vgprAddr+0:\vgprAddr+1], 0x3, v[\vgprAddr+0:\vgprAddr+1] // offset *= bytes/element
.endm

/* Global Offset B */
.macro GLOBAL_OFFSET_B vgprAddr:req vgprOffset1J:req vgprOffsetL:req sgprOffsetK:req vgprTmp:req
v_mul_lo_u32 v[\vgprTmp+0], s[sgprStrideBL], v[\vgprOffsetL] // mul d1 lower
v_mul_hi_u32 v[\vgprTmp+1], s[sgprStrideBL], v[\vgprOffsetL] // mul d1 upper
_v_add_co_u32 v[\vgprAddr+0], vcc, v[\vgprOffset1J], v[\vgprTmp+0] // accumulate K lower
_v_addc_co_u32 v[\vgprAddr+1], vcc, v[\vgprTmp+1], 0, vcc // accumulate K upper
v_mov_b32 v[\vgprTmp+2], s[\sgprOffsetK]           // sgprOffset -> vgprTmp+2
v_mul_lo_u32 v[\vgprTmp+0], s[sgprStrideBK], v[\vgprTmp+2] // other stride mul d2 lower
v_mul_hi_u32 v[\vgprTmp+1], s[sgprStrideBK], v[\vgprTmp+2] // mul d2 upper
_v_add_co_u32 v[\vgprAddr+0], vcc, v[\vgprAddr+0], v[\vgprTmp+0] // accumulate K lower
_v_addc_co_u32 v[\vgprAddr+1], vcc, v[\vgprTmp+1], v[\vgprAddr+1], vcc // accumulate K upper
v_lshlrev_b64 v[\vgprAddr+0:\vgprAddr+1], 0x3, v[\vgprAddr+0:\vgprAddr+1] // offset *= bytes/element
.endm

/******************************************/
/* Dynamic Scalar Divide: vQuotient=vDividend/vDivisor; vRemainder=vDividend%vDivisor; */
/******************************************/
.macro DYNAMIC_VECTOR_DIVIDE vQuotient vRemainder vDividend vDivisor vTmp0 vTmp1 sTmp
v_cvt_f32_u32 v[\vQuotient], v[\vDivisor]          // 
v_rcp_f32 v[\vQuotient], v[\vQuotient]             // 
v_mul_f32 v[\vQuotient], 0x4f800000, v[\vQuotient] // 
v_cvt_u32_f32 v[\vQuotient], v[\vQuotient]         // 
v_mul_lo_u32 v[\vRemainder], v[\vDivisor], v[\vQuotient] // 
v_mul_hi_u32 v[\vTmp0], v[\vDivisor], v[\vQuotient] // 
_v_sub_co_u32 v[\vTmp1], vcc, 0x0, v[\vRemainder]  // 
v_cmp_ne_i32 s[\sTmp:\sTmp+1], 0x0, v[\vTmp0]      // 
v_cndmask_b32 v[\vRemainder], v[\vTmp1], v[\vRemainder], s[\sTmp:\sTmp+1] // 
v_mul_hi_u32 v[\vRemainder], v[\vRemainder], v[\vQuotient] // 
_v_sub_co_u32 v[\vTmp0], vcc, v[\vQuotient], v[\vRemainder] // 
_v_add_co_u32 v[\vQuotient], vcc, v[\vQuotient], v[\vRemainder] // 
v_cndmask_b32 v[\vQuotient], v[\vQuotient], v[\vTmp0], s[\sTmp:\sTmp+1] // 
v_mul_hi_u32 v[\vQuotient], v[\vQuotient], v[\vDividend] // 
v_mul_lo_u32 v[\vRemainder], v[\vQuotient], v[\vDivisor] // 
_v_sub_co_u32 v[\vTmp0], vcc, v[\vDividend], v[\vRemainder] // 
v_cmp_ge_u32 s[\sTmp:\sTmp+1], v[\vDividend], v[\vRemainder] // 
_v_add_co_u32 v[\vRemainder], vcc, 0x1, v[\vQuotient] // 
_v_add_co_u32 v[\vTmp1], vcc, -1, v[\vQuotient]    // 
v_cmp_le_u32 vcc, v[\vDivisor], v[\vTmp0]          // 
s_and_b64 vcc, s[\sTmp:\sTmp+1], vcc               // 
v_cndmask_b32 v[\vQuotient], v[\vQuotient], v[\vRemainder], vcc // 
v_cndmask_b32 v[\vQuotient], v[\vTmp1], v[\vQuotient], s[\sTmp:\sTmp+1] // 
v_cmp_ne_i32 vcc, 0x0, v[\vDivisor]                // 
v_cndmask_b32 v[\vQuotient], -1, v[\vQuotient], vcc // final result
v_mul_lo_u32 v[\vRemainder], v[\vQuotient], v[\vDivisor] // 
_v_sub_co_u32 v[\vRemainder], vcc, v[\vDividend], v[\vRemainder] // final result
.endm


	;; [unrolled: 1-line block ×3, first 2 shown]
/******************************************/
/* Allocate Resources                     */
/******************************************/

Cijk_Ailk_Bjlk_DB_MT128x64x16_MI16x16x4x1_SN_1LDSB0_APM1_AF0EM1_AF1EM1_AMAS3_ASE_ASGT_ASLT_ASM_ASAE01_ASCE01_ASEM1_BL0_BS0_CLR0_DTVA1_DTVB0_ETSP_EPS1_ELFLR0_EMLL0_FSSC10_FL0_GLVWA2_GLVWB2_GRCGA1_GRPM1_GRVW2_GSU1_GSUASB_GLS0_IU1_K1_LBSPPA0_LBSPPB0_LPA0_LPB0_LRVW1_LWPMn1_MIAV1_MKFGSU256_NTA0_NTB0_NTC3_NTD3_NEPBS4_NLCA1_NLCB1_ONLL1_PGR2_PLR1_PKA0_SIA3_SLW1_SS1_SU0_SUM0_SUS0_SPO1_SRVW0_SSO8_SVW2_TSGRA0_TSGRB0_TT2_64_TLDS0_UMLDSA0_UMLDSB0_USFGROn1_VAW1_VSn1_VW2_VWB1_VFLRP0_WSGRA0_WSGRB0_WG64_4_1_WGM30_preloaded: // Kernel start when preloading
s_setprio 3                                        // optimization store

/* Load Kernel Args */
_s_load_b512 s[8:23], s[sgprKernArgAddress:sgprKernArgAddress+1], 0x0 // 
_s_load_b512 s[24:39], s[sgprKernArgAddress:sgprKernArgAddress+1], 0x40 // 
_s_load_b32 s40, s[sgprKernArgAddress:sgprKernArgAddress+1], 0x80 // 
s_mov_b32 m0, 0x4000                               // LDS clamp at 16384 bytes
v_mov_b32 v[vgprSerial], v0                        // thread serial id

/******************************************/
/* Local Read Addresses                   */
/******************************************/


/* local read addresses: tile assignments a/b */

/*lr1J*/
v_and_b32 v1, 63, v[vgprSerial]                    // 0. thread id in wave: wtid = tid % wavelength(64)
v_and_b32 v0, 15, v1                               // 1. N offset: nIdx = wtid % MI_N(16)
                                                   // 1. N offset: nOffset = nIdx * nStride(1) (multiplier is 1, do nothing)
                                                   // 2. block offset: bnIdx = bnIdx % num1DBlocks(1) is 0. do nothing
                                                   // 4. apply VectorWidth: bnOffset = bnOffset * vw(1) (multiplier is 1, do nothing)
v_lshrrev_b32 v1, 4, v1                            // 5. K offset: kIdx = wtid / (MIN(16) * MIBB(1))
v_lshlrev_b32 v1, 0x6, v1                          // 5. K offset: lrKOffset = kIdx * mStride(64)
_v_add_u32 v0, v1, v0                              // 6. offset in wave: lrOffset = bnOffset + lrKOffset


/* local read addresses: final offsets a */



/* local read addresses: final offsets b */

v_lshlrev_b32 v[vgprLocalReadAddrB], 0x3, v0       // Final Offset: offset = (lro1)*bpe


/* local read addresses: declare addresses a */

/* N/A */


/* local read addresses: declare addresses b */

s_waitcnt lgkmcnt(0)                               // wait for 132 bytes of kern args


/* Short circuit condition if Alpha == 0, then sumDims=0 */
v_cmp_eq_f64 vcc, s[sgprAlpha:sgprAlpha+1], 0.0    // Alpha == 0.0 ?
s_cbranch_vccz label_AlphaNonZero                  // branch if Alpha != 0
s_mov_b32 s[sgprSizesSum+0], 0x0                   // Set summation dim=0 if Alpha == 0
label_AlphaNonZero:



/******************************************/
/* Begin setupNewTile, isPap=False           */
/******************************************/


/* global read addresses: work-group */

/* graWorkGroup mapping */
s_mov_b32 s45, 0x4444445L                          // magic number for WGM==30
s_mul_hi_u32 s43, s[sgprWorkGroup1], s45           // s_magic mul
s_mul_i32 s42, s[sgprWorkGroup1], s45              // s_magic mul
s_lshr_b64 s[42:43], s[42:43], 31                  // sMagicDiv
s_mul_i32 s43, s42, 30                             // quotient * non-magic divisor
s_sub_u32 s43, s[sgprWorkGroup1], s43              // WorkGroup1=remainder
s_mul_i32 s43, s43, s[sgprNumWorkGroups0]          // (wg1 % WGM)*nwg0
s_add_u32 s43, s43, s[sgprWorkGroup0]              // wgSerial = wg0 + (wg1 % WGM)*nwg1
s_cmp_ge_u32 s42, s[sgprNumFullBlocks]             // blockId >= numFullBlocks ?
s_cmov_b32 s45, s[sgprMagicNumberWgmRemainder1]    // 
s_cselect_b32 s44, s[sgprWgmRemainder1], 30        // 
s_mul_hi_u32 s3, s43, s45                          // s_magic mul
s_mul_i32 s2, s43, s45                             // s_magic mul
s_lshr_b64 s[2:3], s[2:3], 31                      // sMagicDiv
s_mul_i32 s[sgprWorkGroup1], s[sgprWorkGroup0], s44 // quotient * non-magic divisor
s_sub_u32 s[sgprWorkGroup1], s43, s[sgprWorkGroup1] // WorkGroup1=remainder
s_mul_i32 s42, s42, 30                             // blockId * WGM
s_add_u32 s[sgprWorkGroup1], s[sgprWorkGroup1], s42 // wg1 += blockId * WGM


/* global read addresses: tile offset assignment a */

/* LVCA = 64 */
/* v2 = groA-tile = serial%LVCA + (wgA*MTA) */
/* v1 = groA-unroll = serial/LVCA */
v_and_b32 v1, 63, v[vgprSerial]                    // 0. thread id in wave: wtid = tid % wavelength(64)
v_and_b32 v0, 15, v1                               // 1. N offset: nIdx = wtid % MI_N(16)
                                                   // 1. N offset: nOffset = nIdx * nStride(1) (multiplier is 1, do nothing)
                                                   // 2. block offset: bnIdx = bnIdx % num1DBlocks(1) is 0. do nothing
                                                   // 4. apply VectorWidth: bnOffset = bnOffset * vw(1) (multiplier is 1, do nothing)
v_lshrrev_b32 v1, 4, v1                            // 5. K offset: kIdx = wtid / (MIN(16) * MIBB(1))
v_lshrrev_b32 v4, 6, v[vgprSerial]                 // v4 = v[vgprSerial] / 64
v_and_b32 v3, 3, v4                                // v3 = v4 % 4
v_lshlrev_b32 v3, 0x4, v3                          // v3 = v3 * 16
_v_add_u32 v0, v3, v0                              // 
                                                   // v1 = v1 * 1 (multiplier is 1, do nothing)
/* gro-tile *= glvw */
v_lshlrev_b32 v0, 0x1, v0                          // v0 = v0 * 2
v_lshlrev_b32 v3, 0x7, s[sgprWorkGroup0]           // v3 = s[sgprWorkGroup0] * 128
_v_add_co_u32 v2, vcc, v3, v0                      // groA-tile = serial%LVCA*VW + (wgA*MTA)


/* global read addresses: tile offset assignment b */

/* LVCB = 32 */
/* v5 = groB-tile = serial%LVCB + (wgB*MTB) */
/* v4 = groB-unroll = serial/LVCB */
v_lshrrev_b32 v4, 5, v[vgprSerial]                 // v4 = v[vgprSerial] / 32
v_and_b32 v3, 31, v[vgprSerial]                    // v3 = v[vgprSerial] % 32
/* gro-tile *= glvw */
v_lshlrev_b32 v3, 0x1, v3                          // v3 = v3 * 2
v_lshlrev_b32 v6, 0x6, s[sgprWorkGroup1]           // v6 = s[sgprWorkGroup1] * 64
_v_add_co_u32 v5, vcc, v6, v3                      // groB-tile = serial%LVCB*VW + (wgB*MTB)


/* global read addresses: unroll assignment a */

/* v1 */


/* global read addresses: unroll assignment b */

/* v4 */


/* global read addresses: other free assignments */

/* s[sgprWorkGroup2] */


/* global read addresses: tile offsets a */

v_mov_b32 v6, v2                                   // groA0I_0


/* global read addresses: tile offsets b */

v_mov_b32 v2, v5                                   // groB1J_0


/* global read addresses: unroll offsets a */

v_mov_b32 v7, v1                                   // groAL_0
_v_add_co_u32 v8, vcc, 4, v7                       // groAL_1 + LSPA
_v_add_co_u32 v9, vcc, 4, v8                       // groAL_2 + LSPA
_v_add_co_u32 v10, vcc, 4, v9                      // groAL_3 + LSPA


/* global read addresses: unroll offsets b */

v_mov_b32 v11, v4                                  // groBL_0
_v_add_co_u32 v12, vcc, 8, v11                     // groBL_1 + LSPB


/* global read addresses: shift a */

s_sub_u32 s0, s[sgprSizeI], 2                      // edge = Size0I-2
v_mov_b32 v5, s0                                   // edge vgpr = Size0I-2
v_cmp_lt_u32 s[0:1], v6, v5                        // shiftedOffset < shiftedEdge
v_cndmask_b32 v6, v5, v6, s[0:1]                   // offset = (offset < edge) ? offset(v6) : edge(v5)


/* global read addresses: shift b */

s_sub_u32 s0, s[sgprSizeJ], 2                      // edge = Size1J-2
v_mov_b32 v5, s0                                   // edge vgpr = Size1J-2
v_cmp_lt_u32 s[0:1], v2, v5                        // shiftedOffset < shiftedEdge
v_cndmask_b32 v2, v5, v2, s[0:1]                   // offset = (offset < edge) ? offset(v2) : edge(v5)


/* global read addresses: final offsets a */

GLOBAL_OFFSET_A vgprGlobalReadAddrA+0,  6,  7, sgprWorkGroup2, 13 // gROA_0_0_0_0
GLOBAL_OFFSET_A vgprGlobalReadAddrA+2,  6,  8, sgprWorkGroup2, 13 // gROA_0_0_1_0
GLOBAL_OFFSET_A vgprGlobalReadAddrA+4,  6,  9, sgprWorkGroup2, 13 // gROA_0_0_2_0
GLOBAL_OFFSET_A vgprGlobalReadAddrA+6,  6, 10, sgprWorkGroup2, 13 // gROA_0_0_3_0


/* global read addresses: final offsets b */

GLOBAL_OFFSET_B vgprGlobalReadAddrB+0,  2, 11, sgprWorkGroup2, 5 // gROB_0_0_0_0
GLOBAL_OFFSET_B vgprGlobalReadAddrB+2,  2, 12, sgprWorkGroup2, 5 // gROB_0_0_1_0


/* global read addresses: addresses a */

v_mov_b32 v5, s[sgprAddressA+0]                    // 
v_mov_b32 v6, s[sgprAddressA+1]                    // 
_v_add_co_u32 v[vgprGlobalReadAddrA+0+0], vcc, v[vgprGlobalReadAddrA+0+0], v5 // gRAA_0_0_0_0 = addrA+grOA_0_0_0_0 (lower)
_v_addc_co_u32 v[vgprGlobalReadAddrA+0+1], vcc, v[vgprGlobalReadAddrA+0+1], v6, vcc // gRAA_0_0_0_0 = addrA+grOA_0_0_0_0 (upper)
_v_add_co_u32 v[vgprGlobalReadAddrA+2+0], vcc, v[vgprGlobalReadAddrA+2+0], v5 // gRAA_0_0_1_0 = addrA+grOA_0_0_1_0 (lower)
_v_addc_co_u32 v[vgprGlobalReadAddrA+2+1], vcc, v[vgprGlobalReadAddrA+2+1], v6, vcc // gRAA_0_0_1_0 = addrA+grOA_0_0_1_0 (upper)
_v_add_co_u32 v[vgprGlobalReadAddrA+4+0], vcc, v[vgprGlobalReadAddrA+4+0], v5 // gRAA_0_0_2_0 = addrA+grOA_0_0_2_0 (lower)
_v_addc_co_u32 v[vgprGlobalReadAddrA+4+1], vcc, v[vgprGlobalReadAddrA+4+1], v6, vcc // gRAA_0_0_2_0 = addrA+grOA_0_0_2_0 (upper)
_v_add_co_u32 v[vgprGlobalReadAddrA+6+0], vcc, v[vgprGlobalReadAddrA+6+0], v5 // gRAA_0_0_3_0 = addrA+grOA_0_0_3_0 (lower)
_v_addc_co_u32 v[vgprGlobalReadAddrA+6+1], vcc, v[vgprGlobalReadAddrA+6+1], v6, vcc // gRAA_0_0_3_0 = addrA+grOA_0_0_3_0 (upper)


/* global read addresses: addresses b */

v_mov_b32 v5, s[sgprAddressB+0]                    // 
v_mov_b32 v6, s[sgprAddressB+1]                    // 
_v_add_co_u32 v[vgprGlobalReadAddrB+0+0], vcc, v[vgprGlobalReadAddrB+0+0], v5 // gRAB_0_0_0_0 = addrB+grOB_0_0_0_0 (lower)
_v_addc_co_u32 v[vgprGlobalReadAddrB+0+1], vcc, v[vgprGlobalReadAddrB+0+1], v6, vcc // gRAB_0_0_0_0 = addrB+grOB_0_0_0_0 (upper)
_v_add_co_u32 v[vgprGlobalReadAddrB+2+0], vcc, v[vgprGlobalReadAddrB+2+0], v5 // gRAB_0_0_1_0 = addrB+grOB_0_0_1_0 (lower)
_v_addc_co_u32 v[vgprGlobalReadAddrB+2+1], vcc, v[vgprGlobalReadAddrB+2+1], v6, vcc // gRAB_0_0_1_0 = addrB+grOB_0_0_1_0 (upper)


/* global read addresses: increments a */

s_mul_i32 s0, DepthU*8, s[sgprStrideAL]            // incrAL = s[sgprStrideAL]*DepthU*bpe (unrollIdx)
s_mov_b32 s1, 0x0                                  // (carry)
v_mov_b32 v[vgprGlobalReadIncsA+0+0], s0           // 
v_mov_b32 v[vgprGlobalReadIncsA+0+1], s1           // 


/* global read addresses: increments b */

s_mul_i32 s0, DepthU*8, s[sgprStrideBL]            // incrBL = s[sgprStrideBL]*DepthU*bpe (unrollIdx)
s_mov_b32 s1, 0x0                                  // (carry)
v_mov_b32 v[vgprGlobalReadIncsB+0+0], s0           // 
v_mov_b32 v[vgprGlobalReadIncsB+0+1], s1           // 


/******************************************/
/* Local Write Addresses                  */
/******************************************/

/* lwaTileAssignmentA = v0 */

/* lwaTileAssignmentB = v3 */

/* lwaUnrollAssignmentA = v1 */

/* lwaUnrollAssignmentB = v4 */


/* local write addresses: first offset a */


	;; [unrolled: 1-line block ×3, first 2 shown]
/* local write addresses: first offset b */

v_mul_u32_u24 v[vgprLocalWriteAddrB], 0x40, v4     // lwBL**(MTB + PAD)
_v_add_lshl_u32 v[vgprLocalWriteAddrB], v3, v[vgprLocalWriteAddrB], 0x3 // lwFOB = (lwBB + lwBL*(MT1J+PAD))*bpe


	;; [unrolled: 1-line block ×7, first 2 shown]
/* declare loop num iterations */


s_lshr_b32 s[sgprLoopCounterL], s[sgprSizesSum+0], 4 // s[sgprLoopCounterL] = s[sgprSizesSum+0] / 16
s_mov_b32 s[sgprOrigLoopCounter], s[sgprLoopCounterL] // copy loop counter

/* local read addresses: init pointers a */


/* local read addresses: init pointers b */


/* localReadInitPointers */


/* prefetch: global -> local */

s_cmp_eq_u32 s[sgprLoopCounterL], 0                // at last iteration?
s_setprio 0                                        // optimization store
s_cbranch_scc1 ShadowInitStart_10                  // skip to ShadowInitStart iter b/c numIter==0


_global_load_b128 v[vgprG2LB+0:vgprG2LB+0+3], v[vgprGlobalReadAddrB+0:vgprGlobalReadAddrB+0+1], off, offset:0 // G -> Reg 0_0_0_0
_global_load_b128 v[vgprG2LB+4:vgprG2LB+4+3], v[vgprGlobalReadAddrB+2:vgprGlobalReadAddrB+2+1], off, offset:0 // G -> Reg 0_0_1_0


_global_load_b128 v[vgprG2LA0+0:vgprG2LA0+0+3], v[vgprGlobalReadAddrA+0:vgprGlobalReadAddrA+0+1], off, offset:0 // G -> Reg 0_0_0_0
_global_load_b128 v[vgprG2LA0+4:vgprG2LA0+4+3], v[vgprGlobalReadAddrA+2:vgprGlobalReadAddrA+2+1], off, offset:0 // G -> Reg 0_0_1_0
_global_load_b128 v[vgprG2LA0+8:vgprG2LA0+8+3], v[vgprGlobalReadAddrA+4:vgprGlobalReadAddrA+4+1], off, offset:0 // G -> Reg 0_0_2_0
_global_load_b128 v[vgprG2LA0+12:vgprG2LA0+12+3], v[vgprGlobalReadAddrA+6:vgprGlobalReadAddrA+6+1], off, offset:0 // G -> Reg 0_0_3_0


/* global read inc A loopL */
_v_add_co_u32  v[vgprGlobalReadAddrA+0+0], vcc, v[vgprGlobalReadAddrA+0+0], v[vgprGlobalReadIncsA+0+0] // gra += incAL (lower)
_v_addc_co_u32 v[vgprGlobalReadAddrA+0+1], vcc, v[vgprGlobalReadAddrA+0+1], v[vgprGlobalReadIncsA+0+1], vcc // gra += incAL (upper)
_v_add_co_u32  v[vgprGlobalReadAddrA+2+0], vcc, v[vgprGlobalReadAddrA+2+0], v[vgprGlobalReadIncsA+0+0] // gra += incAL (lower)
_v_addc_co_u32 v[vgprGlobalReadAddrA+2+1], vcc, v[vgprGlobalReadAddrA+2+1], v[vgprGlobalReadIncsA+0+1], vcc // gra += incAL (upper)
	;; [unrolled: 2-line block ×4, first 2 shown]

/* global read inc B loopL */
_v_add_co_u32  v[vgprGlobalReadAddrB+0+0], vcc, v[vgprGlobalReadAddrB+0+0], v[vgprGlobalReadIncsB+0+0] // gra += incBL (lower)
_v_addc_co_u32 v[vgprGlobalReadAddrB+0+1], vcc, v[vgprGlobalReadAddrB+0+1], v[vgprGlobalReadIncsB+0+1], vcc // gra += incBL (upper)
_v_add_co_u32  v[vgprGlobalReadAddrB+2+0], vcc, v[vgprGlobalReadAddrB+2+0], v[vgprGlobalReadIncsB+0+0] // gra += incBL (lower)
_v_addc_co_u32 v[vgprGlobalReadAddrB+2+1], vcc, v[vgprGlobalReadAddrB+2+1], v[vgprGlobalReadIncsB+0+1], vcc // gra += incBL (upper)


/******************************************/
/* End setupNewTile, isPap=False             */
/******************************************/

ShadowInitStart_10: // 


	;; [unrolled: 1-line block ×3, first 2 shown]
/* initC: remove C-tile 0-64 from pool */

/* initC: remove AB-tile 64-80 from pool */
v_mov_b32 v140, 15728640                           // set out-of-bound addr
_ds_load_b64 v[vgprValuC+0:vgprValuC+0+1], v140, offset:0 // initC
_ds_load_b64 v[vgprValuC+2:vgprValuC+2+1], v140, offset:0 // initC
	;; [unrolled: 1-line block ×32, first 2 shown]

s_cmp_eq_u32 s[sgprLoopCounterL], 0                // at last iteration?

/* after InitC, skip to end of prefetch last iter if numIter==0 */
s_cbranch_scc0 label_NoBranch_11                   // Only branch on scc1
s_getpc_B64 s[42:43]                               // addr of next instr
s_add_i32 s44, PrefetchGlobalLastIterEnd_5, 0x4    // target branch offset
s_add_u32 s42, s42, s44                            // add target branch offset
s_addc_u32 s43, s43, 0                             // add high and carry
s_setpc_b64 s[42:43]                               // branch to PrefetchGlobalLastIterEnd_5
label_NoBranch_11:

s_waitcnt vmcnt(4)                                 // lgkmcnt=-1 vmcnt=4 8wait for global read


/* local write a */

/* local write b */
_ds_store_b128 v[vgprLocalWriteAddrB], v[vgprG2LB+0:vgprG2LB+0+3] offset:0 // lwoB_0_0_0_0 = (0*LSCB) + (0*LSPB)(*MT1J+PAD) = 0
_ds_store_b128 v[vgprLocalWriteAddrB], v[vgprG2LB+4:vgprG2LB+4+3] offset:4096 // lwoB_0_0_1_0 = (0*LSCB) + (1*LSPB)(*MT1J+PAD) = 4096


/* local write swap a */


/* (EPS=1) local write swap internal offset -> 8192 */


/* local write swap b */


/* (EPS=1) local write swap internal offset -> 8192 */


	;; [unrolled: 1-line block ×3, first 2 shown]
s_cmp_eq_u32 s[sgprLoopCounterL] 0x1               // PGR=2 but only 1 loop
s_cbranch_scc1 label_0012                          // PGR=2 but only 1 loop


_global_load_b128 v[vgprG2LB+0:vgprG2LB+0+3], v[vgprGlobalReadAddrB+0:vgprGlobalReadAddrB+0+1], off, offset:0 // G -> Reg 0_0_0_0
_global_load_b128 v[vgprG2LB+4:vgprG2LB+4+3], v[vgprGlobalReadAddrB+2:vgprGlobalReadAddrB+2+1], off, offset:0 // G -> Reg 0_0_1_0


_global_load_b128 v[vgprG2LA1+0:vgprG2LA1+0+3], v[vgprGlobalReadAddrA+0:vgprGlobalReadAddrA+0+1], off, offset:0 // G -> Reg 0_0_0_0
_global_load_b128 v[vgprG2LA1+4:vgprG2LA1+4+3], v[vgprGlobalReadAddrA+2:vgprGlobalReadAddrA+2+1], off, offset:0 // G -> Reg 0_0_1_0
_global_load_b128 v[vgprG2LA1+8:vgprG2LA1+8+3], v[vgprGlobalReadAddrA+4:vgprGlobalReadAddrA+4+1], off, offset:0 // G -> Reg 0_0_2_0
_global_load_b128 v[vgprG2LA1+12:vgprG2LA1+12+3], v[vgprGlobalReadAddrA+6:vgprGlobalReadAddrA+6+1], off, offset:0 // G -> Reg 0_0_3_0

label_0012:                                        // 

s_waitcnt lgkmcnt(0)                               // lgkmcnt=0 vmcnt=-10prefetch wait for local write

// Skip force waitcnt0
s_barrier //


/* local read prefetch a */


	;; [unrolled: 1-line block ×3, first 2 shown]
/* local read prefetch b */

_ds_load_b64 v[vgprValuB_X0_I0+0:vgprValuB_X0_I0+0+1], v[vgprLocalReadAddrB] offset:0 // L -> Reg lro=0 swapByteOffset=0 ti=16 vIdx=0 rIdx=0 oIdx=0 buffer=0 iui=0
_ds_load_b64 v[vgprValuB_X0_I0+2:vgprValuB_X0_I0+2+1], v[vgprLocalReadAddrB] offset:128 // L -> Reg lro=0 swapByteOffset=0 ti=16 vIdx=1 rIdx=0 oIdx=0 buffer=0 iui=0
	;; [unrolled: 1-line block ×4, first 2 shown]


/* local read inc a */


	;; [unrolled: 1-line block ×3, first 2 shown]
/* local read inc b */

/* N/A, lro->256 */
/* self.localReadDoCntA 1 self.localReadDoCntB 1 */


	;; [unrolled: 1-line block ×3, first 2 shown]
/******************************************/
/* Unrolled Loop(s) - Begin               */
/******************************************/

openLoopL_13:
s_cmp_eq_u32 s[sgprLoopCounterL], 0x1              // LoopCounterL < EndCounter
s_cbranch_scc1 label_0014                          // PGR=2 but only 1 loop, toPGR1
s_cmp_le_u32 s[sgprLoopCounterL], 0x2              // LoopCounterL < EndCounter
s_cbranch_scc1 LoopEndL_evenexit_4                 // do not enter LoopL
LoopBeginL_1:


/******************************************/
/* Unrolled Loop 1/2 - Begin              */
/******************************************/

label_0015: // LoopCopy1 


/* Begin Each Unroll: Check VGPR.checkin for INT8 LW */


	;; [unrolled: 1-line block ×3, first 2 shown]
/* iter 0 */

s_waitcnt vmcnt(9)                                 // lgkmcnt=-1 vmcnt=9global read wait for DirectToVgpr

/*  grEndMfmaIndex:4, lwStartMfmaIndex:16, lwEndMfmaIndex:23  */
/*  numMfmaForLR:5, barrierMfmaIndex:26, LocalWritePerMfma:0.165 */
/*  mfmaIndex:0  */
s_waitcnt lgkmcnt(0)                               // lgkmcnt=0 vmcnt=-1wait for prior local read local write old=0, new=0 newLW=0 newLR=0
v_mfma_f64_16x16x4_f64 v[0+0:7+0], v[vgprValuB_X0_I0+0+0+0:vgprValuB_X0_I0+0+0+0+1], v[vgprG2LA+0+0:vgprG2LA+0+0+1], v[0:7]
/*  mfmaIndex:1  */
_ds_load_b64 v[vgprValuB_X1_I0+0:vgprValuB_X1_I0+0+1], v[vgprLocalReadAddrB] offset:2048 // L -> Reg lro=256 swapByteOffset=0 ti=16 vIdx=0 rIdx=0 oIdx=0 buffer=1 iui=0
_ds_load_b64 v[vgprValuB_X1_I0+2:vgprValuB_X1_I0+2+1], v[vgprLocalReadAddrB] offset:2176 // L -> Reg lro=256 swapByteOffset=0 ti=16 vIdx=1 rIdx=0 oIdx=0 buffer=1 iui=0

/* global read inc B loopL */
_v_add_co_u32  v[vgprGlobalReadAddrB+0+0], vcc, v[vgprGlobalReadAddrB+0+0], v[vgprGlobalReadIncsB+0+0] // gra += incBL (lower)
_v_addc_co_u32 v[vgprGlobalReadAddrB+0+1], vcc, v[vgprGlobalReadAddrB+0+1], v[vgprGlobalReadIncsB+0+1], vcc // gra += incBL (upper)
_v_add_co_u32  v[vgprGlobalReadAddrB+2+0], vcc, v[vgprGlobalReadAddrB+2+0], v[vgprGlobalReadIncsB+0+0] // gra += incBL (lower)
v_mfma_f64_16x16x4_f64 v[16+0:23+0], v[vgprValuB_X0_I0+2+0+0:vgprValuB_X0_I0+2+0+0+1], v[vgprG2LA+0+0:vgprG2LA+0+0+1], v[16:23]
/*  mfmaIndex:2  */
_ds_load_b64 v[vgprValuB_X1_I0+4:vgprValuB_X1_I0+4+1], v[vgprLocalReadAddrB] offset:2304 // L -> Reg lro=256 swapByteOffset=0 ti=16 vIdx=2 rIdx=0 oIdx=0 buffer=1 iui=0
_ds_load_b64 v[vgprValuB_X1_I0+6:vgprValuB_X1_I0+6+1], v[vgprLocalReadAddrB] offset:2432 // L -> Reg lro=256 swapByteOffset=0 ti=16 vIdx=3 rIdx=0 oIdx=0 buffer=1 iui=0
/* localReadsVacancy: latencyLeft 1 */
_v_addc_co_u32 v[vgprGlobalReadAddrB+2+1], vcc, v[vgprGlobalReadAddrB+2+1], v[vgprGlobalReadIncsB+0+1], vcc // gra += incBL (upper)

/* global read inc A loopL */
_v_add_co_u32  v[vgprGlobalReadAddrA+0+0], vcc, v[vgprGlobalReadAddrA+0+0], v[vgprGlobalReadIncsA+0+0] // gra += incAL (lower)
_v_addc_co_u32 v[vgprGlobalReadAddrA+0+1], vcc, v[vgprGlobalReadAddrA+0+1], v[vgprGlobalReadIncsA+0+1], vcc // gra += incAL (upper)
v_mfma_f64_16x16x4_f64 v[32+0:39+0], v[vgprValuB_X0_I0+4+0+0:vgprValuB_X0_I0+4+0+0+1], v[vgprG2LA+0+0:vgprG2LA+0+0+1], v[32:39]
/*  mfmaIndex:3  */
/* localReadsVacancy: latencyLeft 5 */
_v_add_co_u32  v[vgprGlobalReadAddrA+2+0], vcc, v[vgprGlobalReadAddrA+2+0], v[vgprGlobalReadIncsA+0+0] // gra += incAL (lower)
_v_addc_co_u32 v[vgprGlobalReadAddrA+2+1], vcc, v[vgprGlobalReadAddrA+2+1], v[vgprGlobalReadIncsA+0+1], vcc // gra += incAL (upper)
_v_add_co_u32  v[vgprGlobalReadAddrA+4+0], vcc, v[vgprGlobalReadAddrA+4+0], v[vgprGlobalReadIncsA+0+0] // gra += incAL (lower)
v_mfma_f64_16x16x4_f64 v[48+0:55+0], v[vgprValuB_X0_I0+6+0+0:vgprValuB_X0_I0+6+0+0+1], v[vgprG2LA+0+0:vgprG2LA+0+0+1], v[48:55]
/*  mfmaIndex:4  */
/* localReadsVacancy: latencyLeft 5 */
_v_addc_co_u32 v[vgprGlobalReadAddrA+4+1], vcc, v[vgprGlobalReadAddrA+4+1], v[vgprGlobalReadIncsA+0+1], vcc // gra += incAL (upper)
_v_add_co_u32  v[vgprGlobalReadAddrA+6+0], vcc, v[vgprGlobalReadAddrA+6+0], v[vgprGlobalReadIncsA+0+0] // gra += incAL (lower)
_v_addc_co_u32 v[vgprGlobalReadAddrA+6+1], vcc, v[vgprGlobalReadAddrA+6+1], v[vgprGlobalReadIncsA+0+1], vcc // gra += incAL (upper)
v_mfma_f64_16x16x4_f64 v[56+0:63+0], v[vgprValuB_X0_I0+6+0+0:vgprValuB_X0_I0+6+0+0+1], v[vgprG2LA+2+0:vgprG2LA+2+0+1], v[56:63]
/*  mfmaIndex:5  */
/* localReadsVacancy: latencyLeft 5 */
v_mfma_f64_16x16x4_f64 v[40+0:47+0], v[vgprValuB_X0_I0+4+0+0:vgprValuB_X0_I0+4+0+0+1], v[vgprG2LA+2+0:vgprG2LA+2+0+1], v[40:47]
/*  mfmaIndex:6  */
/* localReadsVacancy: latencyLeft 5 */
v_mfma_f64_16x16x4_f64 v[24+0:31+0], v[vgprValuB_X0_I0+2+0+0:vgprValuB_X0_I0+2+0+0+1], v[vgprG2LA+2+0:vgprG2LA+2+0+1], v[24:31]
/*  mfmaIndex:7  */
/* localReadsVacancy: latencyLeft 5 */
v_mfma_f64_16x16x4_f64 v[8+0:15+0], v[vgprValuB_X0_I0+0+0+0:vgprValuB_X0_I0+0+0+0+1], v[vgprG2LA+2+0:vgprG2LA+2+0+1], v[8:15]
/* numPrefetchIter=0 */
/* dataAtIterA=-1 numReadsIterA=1 skipReadsIterA=1 readsPerIterA=1 */
/* dataAtIterB=-1 numReadsIterB=1 skipReadsIterB=1 readsPerIterB=4 */


/* iter 1 */

s_waitcnt vmcnt(8)                                 // lgkmcnt=-1 vmcnt=8global read wait for DirectToVgpr

/*  grEndMfmaIndex:4, lwStartMfmaIndex:16, lwEndMfmaIndex:23  */
/*  numMfmaForLR:5, barrierMfmaIndex:26, LocalWritePerMfma:0.165 */
/*  mfmaIndex:8  */
_ds_load_b64 v[vgprValuB_X0_I0+0:vgprValuB_X0_I0+0+1], v[vgprLocalReadAddrB] offset:4096 // L -> Reg lro=512 swapByteOffset=0 ti=16 vIdx=0 rIdx=0 oIdx=0 buffer=0 iui=0
_ds_load_b64 v[vgprValuB_X0_I0+2:vgprValuB_X0_I0+2+1], v[vgprLocalReadAddrB] offset:4224 // L -> Reg lro=512 swapByteOffset=0 ti=16 vIdx=1 rIdx=0 oIdx=0 buffer=0 iui=0
s_waitcnt lgkmcnt(2)                               // lgkmcnt=0 vmcnt=-1wait for prior local read local write old=0, new=2 newLW=0 newLR=2
v_mfma_f64_16x16x4_f64 v[0+0:7+0], v[vgprValuB_X1_I0+0+0+0:vgprValuB_X1_I0+0+0+0+1], v[vgprG2LA+4+0:vgprG2LA+4+0+1], v[0:7]
/*  mfmaIndex:9  */
_ds_load_b64 v[vgprValuB_X0_I0+4:vgprValuB_X0_I0+4+1], v[vgprLocalReadAddrB] offset:4352 // L -> Reg lro=512 swapByteOffset=0 ti=16 vIdx=2 rIdx=0 oIdx=0 buffer=0 iui=0
_ds_load_b64 v[vgprValuB_X0_I0+6:vgprValuB_X0_I0+6+1], v[vgprLocalReadAddrB] offset:4480 // L -> Reg lro=512 swapByteOffset=0 ti=16 vIdx=3 rIdx=0 oIdx=0 buffer=0 iui=0
/* localReadsVacancy: latencyLeft 1 */
v_mfma_f64_16x16x4_f64 v[16+0:23+0], v[vgprValuB_X1_I0+2+0+0:vgprValuB_X1_I0+2+0+0+1], v[vgprG2LA+4+0:vgprG2LA+4+0+1], v[16:23]
/*  mfmaIndex:10  */
/* localReadsVacancy: latencyLeft 5 */
v_mfma_f64_16x16x4_f64 v[32+0:39+0], v[vgprValuB_X1_I0+4+0+0:vgprValuB_X1_I0+4+0+0+1], v[vgprG2LA+4+0:vgprG2LA+4+0+1], v[32:39]
/*  mfmaIndex:11  */
	;; [unrolled: 3-line block ×6, first 2 shown]
/* localReadsVacancy: latencyLeft 5 */
v_mfma_f64_16x16x4_f64 v[8+0:15+0], v[vgprValuB_X1_I0+0+0+0:vgprValuB_X1_I0+0+0+0+1], v[vgprG2LA+6+0:vgprG2LA+6+0+1], v[8:15]
/* numPrefetchIter=0 */
/* dataAtIterA=0 numReadsIterA=2 skipReadsIterA=1 readsPerIterA=1 */
/* dataAtIterB=0 numReadsIterB=2 skipReadsIterB=1 readsPerIterB=4 */


/* iter 2 (reset local read pointers iteration)  (swap and reset local write pointers iteration)  (swap local read pointers iteration)  */

s_waitcnt vmcnt(7)                                 // lgkmcnt=-1 vmcnt=7global read wait for DirectToVgpr

/*  grEndMfmaIndex:4, lwStartMfmaIndex:16, lwEndMfmaIndex:23  */
/*  numMfmaForLR:5, barrierMfmaIndex:26, LocalWritePerMfma:0.165 */
/*  mfmaIndex:16  */
_ds_load_b64 v[vgprValuB_X1_I0+0:vgprValuB_X1_I0+0+1], v[vgprLocalReadAddrB] offset:6144 // L -> Reg lro=768 swapByteOffset=0 ti=16 vIdx=0 rIdx=0 oIdx=0 buffer=1 iui=0
s_setprio 3                                        // store optimization
/* sched write - iter 2 writesPerItem=1 */
s_waitcnt vmcnt(0)                                 // lgkmcnt=-1 vmcnt=0wait for global read before writing to local
_ds_store_b128 v[vgprLocalWriteAddrB], v[vgprG2LB+0:vgprG2LB+0+3] offset:8192 // lwoB_0_0_0_0 = (0*LSCB) + (0*LSPB)(*MT1J+PAD) = 8192
s_waitcnt lgkmcnt(2)                               // lgkmcnt=0 vmcnt=-1wait for prior local read local write old=0, new=2 newLW=1 newLR=1
v_mfma_f64_16x16x4_f64 v[0+0:7+0], v[vgprValuB_X0_I0+0+0+0:vgprValuB_X0_I0+0+0+0+1], v[vgprG2LA+8+0:vgprG2LA+8+0+1], v[0:7]
/*  mfmaIndex:17  */
_ds_load_b64 v[vgprValuB_X1_I0+2:vgprValuB_X1_I0+2+1], v[vgprLocalReadAddrB] offset:6272 // L -> Reg lro=768 swapByteOffset=0 ti=16 vIdx=1 rIdx=0 oIdx=0 buffer=1 iui=0
_ds_load_b64 v[vgprValuB_X1_I0+4:vgprValuB_X1_I0+4+1], v[vgprLocalReadAddrB] offset:6400 // L -> Reg lro=768 swapByteOffset=0 ti=16 vIdx=2 rIdx=0 oIdx=0 buffer=1 iui=0
_global_load_b128 v[vgprG2LB+0:vgprG2LB+0+3], v[vgprGlobalReadAddrB+0:vgprGlobalReadAddrB+0+1], off, offset:0 // G -> Reg 0_0_0_0
v_mfma_f64_16x16x4_f64 v[16+0:23+0], v[vgprValuB_X0_I0+2+0+0:vgprValuB_X0_I0+2+0+0+1], v[vgprG2LA+8+0:vgprG2LA+8+0+1], v[16:23]
/*  mfmaIndex:18  */
_ds_load_b64 v[vgprValuB_X1_I0+6:vgprValuB_X1_I0+6+1], v[vgprLocalReadAddrB] offset:6528 // L -> Reg lro=768 swapByteOffset=0 ti=16 vIdx=3 rIdx=0 oIdx=0 buffer=1 iui=0
/* localReadsVacancy: latencyLeft 3 */
v_mfma_f64_16x16x4_f64 v[32+0:39+0], v[vgprValuB_X0_I0+4+0+0:vgprValuB_X0_I0+4+0+0+1], v[vgprG2LA+8+0:vgprG2LA+8+0+1], v[32:39]
/*  mfmaIndex:19  */
/* localReadsVacancy: latencyLeft 5 */
v_mfma_f64_16x16x4_f64 v[48+0:55+0], v[vgprValuB_X0_I0+6+0+0:vgprValuB_X0_I0+6+0+0+1], v[vgprG2LA+8+0:vgprG2LA+8+0+1], v[48:55]
/*  mfmaIndex:20  */
	;; [unrolled: 3-line block ×4, first 2 shown]
/* sched write - iter 2 writesPerItem=1 */
s_waitcnt vmcnt(0)                                 // lgkmcnt=-1 vmcnt=0wait for global read before writing to local
_ds_store_b128 v[vgprLocalWriteAddrB], v[vgprG2LB+4:vgprG2LB+4+3] offset:12288 // lwoB_0_0_1_0 = (0*LSCB) + (1*LSPB)(*MT1J+PAD) = 12288
v_mfma_f64_16x16x4_f64 v[24+0:31+0], v[vgprValuB_X0_I0+2+0+0:vgprValuB_X0_I0+2+0+0+1], v[vgprG2LA+10+0:vgprG2LA+10+0+1], v[24:31]
/*  mfmaIndex:23  */
/* localReadsVacancy: latencyLeft 5 */
_global_load_b128 v[vgprG2LB+4:vgprG2LB+4+3], v[vgprGlobalReadAddrB+2:vgprGlobalReadAddrB+2+1], off, offset:0 // G -> Reg 0_0_1_0

/* local write swap offsets a */

/* (EPS=1) local write swap internal offset -> 0 */

/* local write swap offsets b */

/* (EPS=1) local write swap internal offset -> 0 */

/* local read swap offsets a */

/* local read swap offsets b */

/* local read swap internal offset -> 8192 */

/* local read init pointers a */

/* local read init pointers b */

/* localReadInitPointers */
v_mfma_f64_16x16x4_f64 v[8+0:15+0], v[vgprValuB_X0_I0+0+0+0:vgprValuB_X0_I0+0+0+0+1], v[vgprG2LA+10+0:vgprG2LA+10+0+1], v[8:15]
/* numPrefetchIter=0 */
/* dataAtIterA=1 numReadsIterA=3 skipReadsIterA=1 readsPerIterA=1 */
/* dataAtIterB=1 numReadsIterB=3 skipReadsIterB=1 readsPerIterB=4 */


/* iter 3 */

/*  grEndMfmaIndex:4, lwStartMfmaIndex:16, lwEndMfmaIndex:23  */
/*  numMfmaForLR:5, barrierMfmaIndex:26, LocalWritePerMfma:0.165 */
/*  mfmaIndex:24  */
s_waitcnt lgkmcnt(1)                               // lgkmcnt=0 vmcnt=-1wait for prior local read local write old=0, new=1 newLW=1 newLR=0
v_mfma_f64_16x16x4_f64 v[0+0:7+0], v[vgprValuB_X1_I0+0+0+0:vgprValuB_X1_I0+0+0+0+1], v[vgprG2LA+12+0:vgprG2LA+12+0+1], v[0:7]
/*  mfmaIndex:25  */
v_mfma_f64_16x16x4_f64 v[16+0:23+0], v[vgprValuB_X1_I0+2+0+0:vgprValuB_X1_I0+2+0+0+1], v[vgprG2LA+12+0:vgprG2LA+12+0+1], v[16:23]
_global_load_b128 v[vgprG2LA0+0:vgprG2LA0+0+3], v[vgprGlobalReadAddrA+0:vgprGlobalReadAddrA+0+1], off, offset:0 // G -> Reg 0_0_0_0
s_setprio 0                                        // store optimization
/*  mfmaIndex:26  */
s_waitcnt lgkmcnt(0)                               // lgkmcnt=0 vmcnt=-13wait for local write
s_barrier
v_mfma_f64_16x16x4_f64 v[32+0:39+0], v[vgprValuB_X1_I0+4+0+0:vgprValuB_X1_I0+4+0+0+1], v[vgprG2LA+12+0:vgprG2LA+12+0+1], v[32:39]
/*  mfmaIndex:27  */
s_setprio 3                                        // store optimization
_ds_load_b64 v[vgprValuB_X0_I0+0:vgprValuB_X0_I0+0+1], v[vgprLocalReadAddrB] offset:8192 // L -> Reg lro=0 swapByteOffset=8192 ti=16 vIdx=0 rIdx=0 oIdx=0 buffer=0 iui=0
_ds_load_b64 v[vgprValuB_X0_I0+2:vgprValuB_X0_I0+2+1], v[vgprLocalReadAddrB] offset:8320 // L -> Reg lro=0 swapByteOffset=8192 ti=16 vIdx=1 rIdx=0 oIdx=0 buffer=0 iui=0
v_mfma_f64_16x16x4_f64 v[48+0:55+0], v[vgprValuB_X1_I0+6+0+0:vgprValuB_X1_I0+6+0+0+1], v[vgprG2LA+12+0:vgprG2LA+12+0+1], v[48:55]
_global_load_b128 v[vgprG2LA0+4:vgprG2LA0+4+3], v[vgprGlobalReadAddrA+2:vgprGlobalReadAddrA+2+1], off, offset:0 // G -> Reg 0_0_1_0
/*  mfmaIndex:28  */
_ds_load_b64 v[vgprValuB_X0_I0+4:vgprValuB_X0_I0+4+1], v[vgprLocalReadAddrB] offset:8448 // L -> Reg lro=0 swapByteOffset=8192 ti=16 vIdx=2 rIdx=0 oIdx=0 buffer=0 iui=0
_ds_load_b64 v[vgprValuB_X0_I0+6:vgprValuB_X0_I0+6+1], v[vgprLocalReadAddrB] offset:8576 // L -> Reg lro=0 swapByteOffset=8192 ti=16 vIdx=3 rIdx=0 oIdx=0 buffer=0 iui=0
v_mfma_f64_16x16x4_f64 v[8+0:15+0], v[vgprValuB_X1_I0+0+0+0:vgprValuB_X1_I0+0+0+0+1], v[vgprG2LA+14+0:vgprG2LA+14+0+1], v[8:15]
/*  mfmaIndex:29  */
v_mfma_f64_16x16x4_f64 v[24+0:31+0], v[vgprValuB_X1_I0+2+0+0:vgprValuB_X1_I0+2+0+0+1], v[vgprG2LA+14+0:vgprG2LA+14+0+1], v[24:31]
_global_load_b128 v[vgprG2LA0+8:vgprG2LA0+8+3], v[vgprGlobalReadAddrA+4:vgprGlobalReadAddrA+4+1], off, offset:0 // G -> Reg 0_0_2_0
/*  mfmaIndex:30  */
v_mfma_f64_16x16x4_f64 v[40+0:47+0], v[vgprValuB_X1_I0+4+0+0:vgprValuB_X1_I0+4+0+0+1], v[vgprG2LA+14+0:vgprG2LA+14+0+1], v[40:47]
/*  mfmaIndex:31  */
v_mfma_f64_16x16x4_f64 v[56+0:63+0], v[vgprValuB_X1_I0+6+0+0:vgprValuB_X1_I0+6+0+0+1], v[vgprG2LA+14+0:vgprG2LA+14+0+1], v[56:63]
_global_load_b128 v[vgprG2LA0+12:vgprG2LA0+12+3], v[vgprGlobalReadAddrA+6:vgprGlobalReadAddrA+6+1], off, offset:0 // G -> Reg 0_0_3_0
s_setprio 0                                        // store optimization
/* numPrefetchIter=1 */
/* dataAtIterA=2 numReadsIterA=3 skipReadsIterA=1 readsPerIterA=1 */
/* dataAtIterB=2 numReadsIterB=3 skipReadsIterB=1 readsPerIterB=4 */


/******************************************/
/* Unrolled Loop - End 1/2                */
/******************************************/


/* closeLoop loopL finalLoop=0 tailLoop=0 */
s_sub_u32 s[sgprLoopCounterL], s[sgprLoopCounterL], 1 // dec counterL
s_cmp_eq_i32 s[sgprLoopCounterL], 0x2              // counterL==2
s_cbranch_scc1 LoopEndL_oddexit_3                  // exit LoopL


/******************************************/
/* Unrolled Loop 2/2 - Begin              */
/******************************************/

label_0016: // LoopCopy2 


/* Begin Each Unroll: Check VGPR.checkin for INT8 LW */


	;; [unrolled: 1-line block ×3, first 2 shown]
/* iter 0 */

s_waitcnt vmcnt(9)                                 // lgkmcnt=-1 vmcnt=9global read wait for DirectToVgpr

/*  grEndMfmaIndex:4, lwStartMfmaIndex:16, lwEndMfmaIndex:23  */
/*  numMfmaForLR:5, barrierMfmaIndex:26, LocalWritePerMfma:0.165 */
/*  mfmaIndex:0  */
s_waitcnt lgkmcnt(0)                               // lgkmcnt=0 vmcnt=-1wait for prior local read local write old=0, new=0 newLW=0 newLR=0
v_mfma_f64_16x16x4_f64 v[0+0:7+0], v[vgprValuB_X0_I0+0+0+0:vgprValuB_X0_I0+0+0+0+1], v[vgprG2LA+16+0:vgprG2LA+16+0+1], v[0:7]
/*  mfmaIndex:1  */
_ds_load_b64 v[vgprValuB_X1_I0+0:vgprValuB_X1_I0+0+1], v[vgprLocalReadAddrB] offset:10240 // L -> Reg lro=256 swapByteOffset=8192 ti=16 vIdx=0 rIdx=0 oIdx=0 buffer=1 iui=0
_ds_load_b64 v[vgprValuB_X1_I0+2:vgprValuB_X1_I0+2+1], v[vgprLocalReadAddrB] offset:10368 // L -> Reg lro=256 swapByteOffset=8192 ti=16 vIdx=1 rIdx=0 oIdx=0 buffer=1 iui=0

/* global read inc B loopL */
_v_add_co_u32  v[vgprGlobalReadAddrB+0+0], vcc, v[vgprGlobalReadAddrB+0+0], v[vgprGlobalReadIncsB+0+0] // gra += incBL (lower)
_v_addc_co_u32 v[vgprGlobalReadAddrB+0+1], vcc, v[vgprGlobalReadAddrB+0+1], v[vgprGlobalReadIncsB+0+1], vcc // gra += incBL (upper)
_v_add_co_u32  v[vgprGlobalReadAddrB+2+0], vcc, v[vgprGlobalReadAddrB+2+0], v[vgprGlobalReadIncsB+0+0] // gra += incBL (lower)
v_mfma_f64_16x16x4_f64 v[16+0:23+0], v[vgprValuB_X0_I0+2+0+0:vgprValuB_X0_I0+2+0+0+1], v[vgprG2LA+16+0:vgprG2LA+16+0+1], v[16:23]
/*  mfmaIndex:2  */
_ds_load_b64 v[vgprValuB_X1_I0+4:vgprValuB_X1_I0+4+1], v[vgprLocalReadAddrB] offset:10496 // L -> Reg lro=256 swapByteOffset=8192 ti=16 vIdx=2 rIdx=0 oIdx=0 buffer=1 iui=0
_ds_load_b64 v[vgprValuB_X1_I0+6:vgprValuB_X1_I0+6+1], v[vgprLocalReadAddrB] offset:10624 // L -> Reg lro=256 swapByteOffset=8192 ti=16 vIdx=3 rIdx=0 oIdx=0 buffer=1 iui=0
/* localReadsVacancy: latencyLeft 1 */
_v_addc_co_u32 v[vgprGlobalReadAddrB+2+1], vcc, v[vgprGlobalReadAddrB+2+1], v[vgprGlobalReadIncsB+0+1], vcc // gra += incBL (upper)

/* global read inc A loopL */
_v_add_co_u32  v[vgprGlobalReadAddrA+0+0], vcc, v[vgprGlobalReadAddrA+0+0], v[vgprGlobalReadIncsA+0+0] // gra += incAL (lower)
_v_addc_co_u32 v[vgprGlobalReadAddrA+0+1], vcc, v[vgprGlobalReadAddrA+0+1], v[vgprGlobalReadIncsA+0+1], vcc // gra += incAL (upper)
v_mfma_f64_16x16x4_f64 v[32+0:39+0], v[vgprValuB_X0_I0+4+0+0:vgprValuB_X0_I0+4+0+0+1], v[vgprG2LA+16+0:vgprG2LA+16+0+1], v[32:39]
/*  mfmaIndex:3  */
/* localReadsVacancy: latencyLeft 5 */
_v_add_co_u32  v[vgprGlobalReadAddrA+2+0], vcc, v[vgprGlobalReadAddrA+2+0], v[vgprGlobalReadIncsA+0+0] // gra += incAL (lower)
_v_addc_co_u32 v[vgprGlobalReadAddrA+2+1], vcc, v[vgprGlobalReadAddrA+2+1], v[vgprGlobalReadIncsA+0+1], vcc // gra += incAL (upper)
_v_add_co_u32  v[vgprGlobalReadAddrA+4+0], vcc, v[vgprGlobalReadAddrA+4+0], v[vgprGlobalReadIncsA+0+0] // gra += incAL (lower)
v_mfma_f64_16x16x4_f64 v[48+0:55+0], v[vgprValuB_X0_I0+6+0+0:vgprValuB_X0_I0+6+0+0+1], v[vgprG2LA+16+0:vgprG2LA+16+0+1], v[48:55]
/*  mfmaIndex:4  */
/* localReadsVacancy: latencyLeft 5 */
_v_addc_co_u32 v[vgprGlobalReadAddrA+4+1], vcc, v[vgprGlobalReadAddrA+4+1], v[vgprGlobalReadIncsA+0+1], vcc // gra += incAL (upper)
_v_add_co_u32  v[vgprGlobalReadAddrA+6+0], vcc, v[vgprGlobalReadAddrA+6+0], v[vgprGlobalReadIncsA+0+0] // gra += incAL (lower)
_v_addc_co_u32 v[vgprGlobalReadAddrA+6+1], vcc, v[vgprGlobalReadAddrA+6+1], v[vgprGlobalReadIncsA+0+1], vcc // gra += incAL (upper)
v_mfma_f64_16x16x4_f64 v[56+0:63+0], v[vgprValuB_X0_I0+6+0+0:vgprValuB_X0_I0+6+0+0+1], v[vgprG2LA+18+0:vgprG2LA+18+0+1], v[56:63]
/*  mfmaIndex:5  */
/* localReadsVacancy: latencyLeft 5 */
v_mfma_f64_16x16x4_f64 v[40+0:47+0], v[vgprValuB_X0_I0+4+0+0:vgprValuB_X0_I0+4+0+0+1], v[vgprG2LA+18+0:vgprG2LA+18+0+1], v[40:47]
/*  mfmaIndex:6  */
/* localReadsVacancy: latencyLeft 5 */
v_mfma_f64_16x16x4_f64 v[24+0:31+0], v[vgprValuB_X0_I0+2+0+0:vgprValuB_X0_I0+2+0+0+1], v[vgprG2LA+18+0:vgprG2LA+18+0+1], v[24:31]
/*  mfmaIndex:7  */
/* localReadsVacancy: latencyLeft 5 */
v_mfma_f64_16x16x4_f64 v[8+0:15+0], v[vgprValuB_X0_I0+0+0+0:vgprValuB_X0_I0+0+0+0+1], v[vgprG2LA+18+0:vgprG2LA+18+0+1], v[8:15]
/* numPrefetchIter=0 */
/* dataAtIterA=-1 numReadsIterA=1 skipReadsIterA=1 readsPerIterA=1 */
/* dataAtIterB=-1 numReadsIterB=1 skipReadsIterB=1 readsPerIterB=4 */


/* iter 1 */

s_waitcnt vmcnt(8)                                 // lgkmcnt=-1 vmcnt=8global read wait for DirectToVgpr

/*  grEndMfmaIndex:4, lwStartMfmaIndex:16, lwEndMfmaIndex:23  */
/*  numMfmaForLR:5, barrierMfmaIndex:26, LocalWritePerMfma:0.165 */
/*  mfmaIndex:8  */
_ds_load_b64 v[vgprValuB_X0_I0+0:vgprValuB_X0_I0+0+1], v[vgprLocalReadAddrB] offset:12288 // L -> Reg lro=512 swapByteOffset=8192 ti=16 vIdx=0 rIdx=0 oIdx=0 buffer=0 iui=0
_ds_load_b64 v[vgprValuB_X0_I0+2:vgprValuB_X0_I0+2+1], v[vgprLocalReadAddrB] offset:12416 // L -> Reg lro=512 swapByteOffset=8192 ti=16 vIdx=1 rIdx=0 oIdx=0 buffer=0 iui=0
s_waitcnt lgkmcnt(2)                               // lgkmcnt=0 vmcnt=-1wait for prior local read local write old=0, new=2 newLW=0 newLR=2
v_mfma_f64_16x16x4_f64 v[0+0:7+0], v[vgprValuB_X1_I0+0+0+0:vgprValuB_X1_I0+0+0+0+1], v[vgprG2LA+20+0:vgprG2LA+20+0+1], v[0:7]
/*  mfmaIndex:9  */
_ds_load_b64 v[vgprValuB_X0_I0+4:vgprValuB_X0_I0+4+1], v[vgprLocalReadAddrB] offset:12544 // L -> Reg lro=512 swapByteOffset=8192 ti=16 vIdx=2 rIdx=0 oIdx=0 buffer=0 iui=0
_ds_load_b64 v[vgprValuB_X0_I0+6:vgprValuB_X0_I0+6+1], v[vgprLocalReadAddrB] offset:12672 // L -> Reg lro=512 swapByteOffset=8192 ti=16 vIdx=3 rIdx=0 oIdx=0 buffer=0 iui=0
/* localReadsVacancy: latencyLeft 1 */
v_mfma_f64_16x16x4_f64 v[16+0:23+0], v[vgprValuB_X1_I0+2+0+0:vgprValuB_X1_I0+2+0+0+1], v[vgprG2LA+20+0:vgprG2LA+20+0+1], v[16:23]
/*  mfmaIndex:10  */
/* localReadsVacancy: latencyLeft 5 */
v_mfma_f64_16x16x4_f64 v[32+0:39+0], v[vgprValuB_X1_I0+4+0+0:vgprValuB_X1_I0+4+0+0+1], v[vgprG2LA+20+0:vgprG2LA+20+0+1], v[32:39]
/*  mfmaIndex:11  */
	;; [unrolled: 3-line block ×6, first 2 shown]
/* localReadsVacancy: latencyLeft 5 */
v_mfma_f64_16x16x4_f64 v[8+0:15+0], v[vgprValuB_X1_I0+0+0+0:vgprValuB_X1_I0+0+0+0+1], v[vgprG2LA+22+0:vgprG2LA+22+0+1], v[8:15]
/* numPrefetchIter=0 */
/* dataAtIterA=0 numReadsIterA=2 skipReadsIterA=1 readsPerIterA=1 */
/* dataAtIterB=0 numReadsIterB=2 skipReadsIterB=1 readsPerIterB=4 */


/* iter 2 (reset local read pointers iteration)  (swap and reset local write pointers iteration)  (swap local read pointers iteration)  */

s_waitcnt vmcnt(7)                                 // lgkmcnt=-1 vmcnt=7global read wait for DirectToVgpr

/*  grEndMfmaIndex:4, lwStartMfmaIndex:16, lwEndMfmaIndex:23  */
/*  numMfmaForLR:5, barrierMfmaIndex:26, LocalWritePerMfma:0.165 */
/*  mfmaIndex:16  */
_ds_load_b64 v[vgprValuB_X1_I0+0:vgprValuB_X1_I0+0+1], v[vgprLocalReadAddrB] offset:14336 // L -> Reg lro=768 swapByteOffset=8192 ti=16 vIdx=0 rIdx=0 oIdx=0 buffer=1 iui=0
s_setprio 3                                        // store optimization
/* sched write - iter 2 writesPerItem=1 */
s_waitcnt vmcnt(0)                                 // lgkmcnt=-1 vmcnt=0wait for global read before writing to local
_ds_store_b128 v[vgprLocalWriteAddrB], v[vgprG2LB+0:vgprG2LB+0+3] offset:0 // lwoB_0_0_0_0 = (0*LSCB) + (0*LSPB)(*MT1J+PAD) = 0
s_waitcnt lgkmcnt(2)                               // lgkmcnt=0 vmcnt=-1wait for prior local read local write old=0, new=2 newLW=1 newLR=1
v_mfma_f64_16x16x4_f64 v[0+0:7+0], v[vgprValuB_X0_I0+0+0+0:vgprValuB_X0_I0+0+0+0+1], v[vgprG2LA+24+0:vgprG2LA+24+0+1], v[0:7]
/*  mfmaIndex:17  */
_ds_load_b64 v[vgprValuB_X1_I0+2:vgprValuB_X1_I0+2+1], v[vgprLocalReadAddrB] offset:14464 // L -> Reg lro=768 swapByteOffset=8192 ti=16 vIdx=1 rIdx=0 oIdx=0 buffer=1 iui=0
_ds_load_b64 v[vgprValuB_X1_I0+4:vgprValuB_X1_I0+4+1], v[vgprLocalReadAddrB] offset:14592 // L -> Reg lro=768 swapByteOffset=8192 ti=16 vIdx=2 rIdx=0 oIdx=0 buffer=1 iui=0
_global_load_b128 v[vgprG2LB+0:vgprG2LB+0+3], v[vgprGlobalReadAddrB+0:vgprGlobalReadAddrB+0+1], off, offset:0 // G -> Reg 0_0_0_0
v_mfma_f64_16x16x4_f64 v[16+0:23+0], v[vgprValuB_X0_I0+2+0+0:vgprValuB_X0_I0+2+0+0+1], v[vgprG2LA+24+0:vgprG2LA+24+0+1], v[16:23]
/*  mfmaIndex:18  */
_ds_load_b64 v[vgprValuB_X1_I0+6:vgprValuB_X1_I0+6+1], v[vgprLocalReadAddrB] offset:14720 // L -> Reg lro=768 swapByteOffset=8192 ti=16 vIdx=3 rIdx=0 oIdx=0 buffer=1 iui=0
/* localReadsVacancy: latencyLeft 3 */
v_mfma_f64_16x16x4_f64 v[32+0:39+0], v[vgprValuB_X0_I0+4+0+0:vgprValuB_X0_I0+4+0+0+1], v[vgprG2LA+24+0:vgprG2LA+24+0+1], v[32:39]
/*  mfmaIndex:19  */
/* localReadsVacancy: latencyLeft 5 */
v_mfma_f64_16x16x4_f64 v[48+0:55+0], v[vgprValuB_X0_I0+6+0+0:vgprValuB_X0_I0+6+0+0+1], v[vgprG2LA+24+0:vgprG2LA+24+0+1], v[48:55]
/*  mfmaIndex:20  */
	;; [unrolled: 3-line block ×4, first 2 shown]
/* sched write - iter 2 writesPerItem=1 */
s_waitcnt vmcnt(0)                                 // lgkmcnt=-1 vmcnt=0wait for global read before writing to local
_ds_store_b128 v[vgprLocalWriteAddrB], v[vgprG2LB+4:vgprG2LB+4+3] offset:4096 // lwoB_0_0_1_0 = (0*LSCB) + (1*LSPB)(*MT1J+PAD) = 4096
v_mfma_f64_16x16x4_f64 v[24+0:31+0], v[vgprValuB_X0_I0+2+0+0:vgprValuB_X0_I0+2+0+0+1], v[vgprG2LA+26+0:vgprG2LA+26+0+1], v[24:31]
/*  mfmaIndex:23  */
/* localReadsVacancy: latencyLeft 5 */
_global_load_b128 v[vgprG2LB+4:vgprG2LB+4+3], v[vgprGlobalReadAddrB+2:vgprGlobalReadAddrB+2+1], off, offset:0 // G -> Reg 0_0_1_0

/* local write swap offsets a */

/* (EPS=1) local write swap internal offset -> 8192 */

/* local write swap offsets b */

/* (EPS=1) local write swap internal offset -> 8192 */

/* local read swap offsets a */

/* local read swap offsets b */

/* local read swap internal offset -> 0 */

/* local read init pointers a */

/* local read init pointers b */

/* localReadInitPointers */
v_mfma_f64_16x16x4_f64 v[8+0:15+0], v[vgprValuB_X0_I0+0+0+0:vgprValuB_X0_I0+0+0+0+1], v[vgprG2LA+26+0:vgprG2LA+26+0+1], v[8:15]
/* numPrefetchIter=0 */
/* dataAtIterA=1 numReadsIterA=3 skipReadsIterA=1 readsPerIterA=1 */
/* dataAtIterB=1 numReadsIterB=3 skipReadsIterB=1 readsPerIterB=4 */


/* iter 3 */

/*  grEndMfmaIndex:4, lwStartMfmaIndex:16, lwEndMfmaIndex:23  */
/*  numMfmaForLR:5, barrierMfmaIndex:26, LocalWritePerMfma:0.165 */
/*  mfmaIndex:24  */
s_waitcnt lgkmcnt(1)                               // lgkmcnt=0 vmcnt=-1wait for prior local read local write old=0, new=1 newLW=1 newLR=0
v_mfma_f64_16x16x4_f64 v[0+0:7+0], v[vgprValuB_X1_I0+0+0+0:vgprValuB_X1_I0+0+0+0+1], v[vgprG2LA+28+0:vgprG2LA+28+0+1], v[0:7]
/*  mfmaIndex:25  */
v_mfma_f64_16x16x4_f64 v[16+0:23+0], v[vgprValuB_X1_I0+2+0+0:vgprValuB_X1_I0+2+0+0+1], v[vgprG2LA+28+0:vgprG2LA+28+0+1], v[16:23]
_global_load_b128 v[vgprG2LA1+0:vgprG2LA1+0+3], v[vgprGlobalReadAddrA+0:vgprGlobalReadAddrA+0+1], off, offset:0 // G -> Reg 0_0_0_0
s_setprio 0                                        // store optimization
/*  mfmaIndex:26  */
s_waitcnt lgkmcnt(0)                               // lgkmcnt=0 vmcnt=-13wait for local write
s_barrier
v_mfma_f64_16x16x4_f64 v[32+0:39+0], v[vgprValuB_X1_I0+4+0+0:vgprValuB_X1_I0+4+0+0+1], v[vgprG2LA+28+0:vgprG2LA+28+0+1], v[32:39]
/*  mfmaIndex:27  */
s_setprio 3                                        // store optimization
_ds_load_b64 v[vgprValuB_X0_I0+0:vgprValuB_X0_I0+0+1], v[vgprLocalReadAddrB] offset:0 // L -> Reg lro=0 swapByteOffset=0 ti=16 vIdx=0 rIdx=0 oIdx=0 buffer=0 iui=0
_ds_load_b64 v[vgprValuB_X0_I0+2:vgprValuB_X0_I0+2+1], v[vgprLocalReadAddrB] offset:128 // L -> Reg lro=0 swapByteOffset=0 ti=16 vIdx=1 rIdx=0 oIdx=0 buffer=0 iui=0
v_mfma_f64_16x16x4_f64 v[48+0:55+0], v[vgprValuB_X1_I0+6+0+0:vgprValuB_X1_I0+6+0+0+1], v[vgprG2LA+28+0:vgprG2LA+28+0+1], v[48:55]
_global_load_b128 v[vgprG2LA1+4:vgprG2LA1+4+3], v[vgprGlobalReadAddrA+2:vgprGlobalReadAddrA+2+1], off, offset:0 // G -> Reg 0_0_1_0
/*  mfmaIndex:28  */
_ds_load_b64 v[vgprValuB_X0_I0+4:vgprValuB_X0_I0+4+1], v[vgprLocalReadAddrB] offset:256 // L -> Reg lro=0 swapByteOffset=0 ti=16 vIdx=2 rIdx=0 oIdx=0 buffer=0 iui=0
_ds_load_b64 v[vgprValuB_X0_I0+6:vgprValuB_X0_I0+6+1], v[vgprLocalReadAddrB] offset:384 // L -> Reg lro=0 swapByteOffset=0 ti=16 vIdx=3 rIdx=0 oIdx=0 buffer=0 iui=0
v_mfma_f64_16x16x4_f64 v[8+0:15+0], v[vgprValuB_X1_I0+0+0+0:vgprValuB_X1_I0+0+0+0+1], v[vgprG2LA+30+0:vgprG2LA+30+0+1], v[8:15]
/*  mfmaIndex:29  */
v_mfma_f64_16x16x4_f64 v[24+0:31+0], v[vgprValuB_X1_I0+2+0+0:vgprValuB_X1_I0+2+0+0+1], v[vgprG2LA+30+0:vgprG2LA+30+0+1], v[24:31]
_global_load_b128 v[vgprG2LA1+8:vgprG2LA1+8+3], v[vgprGlobalReadAddrA+4:vgprGlobalReadAddrA+4+1], off, offset:0 // G -> Reg 0_0_2_0
/*  mfmaIndex:30  */
v_mfma_f64_16x16x4_f64 v[40+0:47+0], v[vgprValuB_X1_I0+4+0+0:vgprValuB_X1_I0+4+0+0+1], v[vgprG2LA+30+0:vgprG2LA+30+0+1], v[40:47]
/*  mfmaIndex:31  */
v_mfma_f64_16x16x4_f64 v[56+0:63+0], v[vgprValuB_X1_I0+6+0+0:vgprValuB_X1_I0+6+0+0+1], v[vgprG2LA+30+0:vgprG2LA+30+0+1], v[56:63]
_global_load_b128 v[vgprG2LA1+12:vgprG2LA1+12+3], v[vgprGlobalReadAddrA+6:vgprGlobalReadAddrA+6+1], off, offset:0 // G -> Reg 0_0_3_0
s_setprio 0                                        // store optimization
/* numPrefetchIter=1 */
/* dataAtIterA=2 numReadsIterA=3 skipReadsIterA=1 readsPerIterA=1 */
/* dataAtIterB=2 numReadsIterB=3 skipReadsIterB=1 readsPerIterB=4 */


/******************************************/
/* Unrolled Loop - End 2/2 (final)        */
/******************************************/


/* closeLoop loopL finalLoop=1 tailLoop=0 */
s_sub_u32 s[sgprLoopCounterL], s[sgprLoopCounterL], 1 // dec counterL
s_cmp_eq_i32 s[sgprLoopCounterL], 0x2              // counterL==2
s_cbranch_scc0 LoopBeginL_1                        // restart LoopL
LoopEndL_evenexit_4: // unroll loop eveniter exit
v_xor_b32 v[vgprLocalWriteAddrB+0], 0x2000, v[vgprLocalWriteAddrB+0] // swap Red Blk

/* (EPS=1) local write swap internal offset -> 0 */

/* (EPS=1) local write swap internal offset -> 0 */
s_branch LoopEndL_2                                // exit unroll loopL (and skip second exit code)
LoopEndL_oddexit_3: // unroll loop odditer exit

/* Select high bank of LDS */
v_xor_b32 v[vgprLocalReadAddrB], 0x2000, v[vgprLocalReadAddrB] // swap Red Blk
LoopEndL_2:


/* Before NLL: Check VGPR.checkin for INT8 LW */


/******************************************/
/* Ord. NoGlobalLoadLoop - Begin                                      */
/******************************************/


s_and_b32 s0, s[sgprOrigLoopCounter], 1            // test if OrigLoopCounter is Odd ?
s_cbranch_scc0 label_0017                          // Skip odd code if OrigLoopCounter is Even


/* iter 0 */

s_waitcnt vmcnt(9)                                 // lgkmcnt=-1 vmcnt=9global read wait for DirectToVgpr

/*  grEndMfmaIndex:4, lwStartMfmaIndex:16, lwEndMfmaIndex:23  */
/*  numMfmaForLR:5, barrierMfmaIndex:26, LocalWritePerMfma:0.165 */
/*  mfmaIndex:0  */
s_waitcnt lgkmcnt(0)                               // lgkmcnt=0 vmcnt=-1wait for prior local read local write old=0, new=0 newLW=0 newLR=0
v_mfma_f64_16x16x4_f64 v[0+0:7+0], v[vgprValuB_X0_I0+0+0+0:vgprValuB_X0_I0+0+0+0+1], v[vgprG2LA+16+0:vgprG2LA+16+0+1], v[0:7]
/*  mfmaIndex:1  */
_ds_load_b64 v[vgprValuB_X1_I0+0:vgprValuB_X1_I0+0+1], v[vgprLocalReadAddrB] offset:2048 // L -> Reg lro=256 swapByteOffset=0 ti=16 vIdx=0 rIdx=0 oIdx=0 buffer=1 iui=0
_ds_load_b64 v[vgprValuB_X1_I0+2:vgprValuB_X1_I0+2+1], v[vgprLocalReadAddrB] offset:2176 // L -> Reg lro=256 swapByteOffset=0 ti=16 vIdx=1 rIdx=0 oIdx=0 buffer=1 iui=0

/* global read inc B loopL */
_v_add_co_u32  v[vgprGlobalReadAddrB+0+0], vcc, v[vgprGlobalReadAddrB+0+0], v[vgprGlobalReadIncsB+0+0] // gra += incBL (lower)
_v_addc_co_u32 v[vgprGlobalReadAddrB+0+1], vcc, v[vgprGlobalReadAddrB+0+1], v[vgprGlobalReadIncsB+0+1], vcc // gra += incBL (upper)
_v_add_co_u32  v[vgprGlobalReadAddrB+2+0], vcc, v[vgprGlobalReadAddrB+2+0], v[vgprGlobalReadIncsB+0+0] // gra += incBL (lower)
v_mfma_f64_16x16x4_f64 v[16+0:23+0], v[vgprValuB_X0_I0+2+0+0:vgprValuB_X0_I0+2+0+0+1], v[vgprG2LA+16+0:vgprG2LA+16+0+1], v[16:23]
/*  mfmaIndex:2  */
_ds_load_b64 v[vgprValuB_X1_I0+4:vgprValuB_X1_I0+4+1], v[vgprLocalReadAddrB] offset:2304 // L -> Reg lro=256 swapByteOffset=0 ti=16 vIdx=2 rIdx=0 oIdx=0 buffer=1 iui=0
_ds_load_b64 v[vgprValuB_X1_I0+6:vgprValuB_X1_I0+6+1], v[vgprLocalReadAddrB] offset:2432 // L -> Reg lro=256 swapByteOffset=0 ti=16 vIdx=3 rIdx=0 oIdx=0 buffer=1 iui=0
/* localReadsVacancy: latencyLeft 1 */
_v_addc_co_u32 v[vgprGlobalReadAddrB+2+1], vcc, v[vgprGlobalReadAddrB+2+1], v[vgprGlobalReadIncsB+0+1], vcc // gra += incBL (upper)

/* global read inc A loopL */
_v_add_co_u32  v[vgprGlobalReadAddrA+0+0], vcc, v[vgprGlobalReadAddrA+0+0], v[vgprGlobalReadIncsA+0+0] // gra += incAL (lower)
_v_addc_co_u32 v[vgprGlobalReadAddrA+0+1], vcc, v[vgprGlobalReadAddrA+0+1], v[vgprGlobalReadIncsA+0+1], vcc // gra += incAL (upper)
v_mfma_f64_16x16x4_f64 v[32+0:39+0], v[vgprValuB_X0_I0+4+0+0:vgprValuB_X0_I0+4+0+0+1], v[vgprG2LA+16+0:vgprG2LA+16+0+1], v[32:39]
/*  mfmaIndex:3  */
/* localReadsVacancy: latencyLeft 5 */
_v_add_co_u32  v[vgprGlobalReadAddrA+2+0], vcc, v[vgprGlobalReadAddrA+2+0], v[vgprGlobalReadIncsA+0+0] // gra += incAL (lower)
_v_addc_co_u32 v[vgprGlobalReadAddrA+2+1], vcc, v[vgprGlobalReadAddrA+2+1], v[vgprGlobalReadIncsA+0+1], vcc // gra += incAL (upper)
_v_add_co_u32  v[vgprGlobalReadAddrA+4+0], vcc, v[vgprGlobalReadAddrA+4+0], v[vgprGlobalReadIncsA+0+0] // gra += incAL (lower)
v_mfma_f64_16x16x4_f64 v[48+0:55+0], v[vgprValuB_X0_I0+6+0+0:vgprValuB_X0_I0+6+0+0+1], v[vgprG2LA+16+0:vgprG2LA+16+0+1], v[48:55]
/*  mfmaIndex:4  */
/* localReadsVacancy: latencyLeft 5 */
_v_addc_co_u32 v[vgprGlobalReadAddrA+4+1], vcc, v[vgprGlobalReadAddrA+4+1], v[vgprGlobalReadIncsA+0+1], vcc // gra += incAL (upper)
_v_add_co_u32  v[vgprGlobalReadAddrA+6+0], vcc, v[vgprGlobalReadAddrA+6+0], v[vgprGlobalReadIncsA+0+0] // gra += incAL (lower)
_v_addc_co_u32 v[vgprGlobalReadAddrA+6+1], vcc, v[vgprGlobalReadAddrA+6+1], v[vgprGlobalReadIncsA+0+1], vcc // gra += incAL (upper)
v_mfma_f64_16x16x4_f64 v[56+0:63+0], v[vgprValuB_X0_I0+6+0+0:vgprValuB_X0_I0+6+0+0+1], v[vgprG2LA+18+0:vgprG2LA+18+0+1], v[56:63]
/*  mfmaIndex:5  */
/* localReadsVacancy: latencyLeft 5 */
v_mfma_f64_16x16x4_f64 v[40+0:47+0], v[vgprValuB_X0_I0+4+0+0:vgprValuB_X0_I0+4+0+0+1], v[vgprG2LA+18+0:vgprG2LA+18+0+1], v[40:47]
/*  mfmaIndex:6  */
/* localReadsVacancy: latencyLeft 5 */
	;; [unrolled: 3-line block ×3, first 2 shown]
v_mfma_f64_16x16x4_f64 v[8+0:15+0], v[vgprValuB_X0_I0+0+0+0:vgprValuB_X0_I0+0+0+0+1], v[vgprG2LA+18+0:vgprG2LA+18+0+1], v[8:15]
/* numPrefetchIter=0 */
/* dataAtIterA=-1 numReadsIterA=1 skipReadsIterA=1 readsPerIterA=1 */
/* dataAtIterB=-1 numReadsIterB=1 skipReadsIterB=1 readsPerIterB=4 */


/* iter 1 */

s_waitcnt vmcnt(8)                                 // lgkmcnt=-1 vmcnt=8global read wait for DirectToVgpr

/*  grEndMfmaIndex:4, lwStartMfmaIndex:16, lwEndMfmaIndex:23  */
/*  numMfmaForLR:5, barrierMfmaIndex:26, LocalWritePerMfma:0.165 */
/*  mfmaIndex:8  */
_ds_load_b64 v[vgprValuB_X0_I0+0:vgprValuB_X0_I0+0+1], v[vgprLocalReadAddrB] offset:4096 // L -> Reg lro=512 swapByteOffset=0 ti=16 vIdx=0 rIdx=0 oIdx=0 buffer=0 iui=0
_ds_load_b64 v[vgprValuB_X0_I0+2:vgprValuB_X0_I0+2+1], v[vgprLocalReadAddrB] offset:4224 // L -> Reg lro=512 swapByteOffset=0 ti=16 vIdx=1 rIdx=0 oIdx=0 buffer=0 iui=0
s_waitcnt lgkmcnt(2)                               // lgkmcnt=0 vmcnt=-1wait for prior local read local write old=0, new=2 newLW=0 newLR=2
v_mfma_f64_16x16x4_f64 v[0+0:7+0], v[vgprValuB_X1_I0+0+0+0:vgprValuB_X1_I0+0+0+0+1], v[vgprG2LA+20+0:vgprG2LA+20+0+1], v[0:7]
/*  mfmaIndex:9  */
_ds_load_b64 v[vgprValuB_X0_I0+4:vgprValuB_X0_I0+4+1], v[vgprLocalReadAddrB] offset:4352 // L -> Reg lro=512 swapByteOffset=0 ti=16 vIdx=2 rIdx=0 oIdx=0 buffer=0 iui=0
_ds_load_b64 v[vgprValuB_X0_I0+6:vgprValuB_X0_I0+6+1], v[vgprLocalReadAddrB] offset:4480 // L -> Reg lro=512 swapByteOffset=0 ti=16 vIdx=3 rIdx=0 oIdx=0 buffer=0 iui=0
/* localReadsVacancy: latencyLeft 1 */
v_mfma_f64_16x16x4_f64 v[16+0:23+0], v[vgprValuB_X1_I0+2+0+0:vgprValuB_X1_I0+2+0+0+1], v[vgprG2LA+20+0:vgprG2LA+20+0+1], v[16:23]
/*  mfmaIndex:10  */
/* localReadsVacancy: latencyLeft 5 */
v_mfma_f64_16x16x4_f64 v[32+0:39+0], v[vgprValuB_X1_I0+4+0+0:vgprValuB_X1_I0+4+0+0+1], v[vgprG2LA+20+0:vgprG2LA+20+0+1], v[32:39]
/*  mfmaIndex:11  */
	;; [unrolled: 3-line block ×6, first 2 shown]
/* localReadsVacancy: latencyLeft 5 */
v_mfma_f64_16x16x4_f64 v[8+0:15+0], v[vgprValuB_X1_I0+0+0+0:vgprValuB_X1_I0+0+0+0+1], v[vgprG2LA+22+0:vgprG2LA+22+0+1], v[8:15]
/* numPrefetchIter=0 */
/* dataAtIterA=0 numReadsIterA=2 skipReadsIterA=1 readsPerIterA=1 */
/* dataAtIterB=0 numReadsIterB=2 skipReadsIterB=1 readsPerIterB=4 */


/* iter 2 (reset local read pointers iteration)  (swap and reset local write pointers iteration)  (swap local read pointers iteration)  */

s_waitcnt vmcnt(7)                                 // lgkmcnt=-1 vmcnt=7global read wait for DirectToVgpr

/*  grEndMfmaIndex:4, lwStartMfmaIndex:16, lwEndMfmaIndex:23  */
/*  numMfmaForLR:5, barrierMfmaIndex:26, LocalWritePerMfma:0.165 */
/*  mfmaIndex:16  */
_ds_load_b64 v[vgprValuB_X1_I0+0:vgprValuB_X1_I0+0+1], v[vgprLocalReadAddrB] offset:6144 // L -> Reg lro=768 swapByteOffset=0 ti=16 vIdx=0 rIdx=0 oIdx=0 buffer=1 iui=0
s_setprio 3                                        // store optimization
/* sched write - iter 2 writesPerItem=1 */
s_waitcnt vmcnt(0)                                 // lgkmcnt=-1 vmcnt=0wait for global read before writing to local
_ds_store_b128 v[vgprLocalWriteAddrB], v[vgprG2LB+0:vgprG2LB+0+3] offset:0 // lwoB_0_0_0_0 = (0*LSCB) + (0*LSPB)(*MT1J+PAD) = 0
s_waitcnt lgkmcnt(2)                               // lgkmcnt=0 vmcnt=-1wait for prior local read local write old=0, new=2 newLW=1 newLR=1
v_mfma_f64_16x16x4_f64 v[0+0:7+0], v[vgprValuB_X0_I0+0+0+0:vgprValuB_X0_I0+0+0+0+1], v[vgprG2LA+24+0:vgprG2LA+24+0+1], v[0:7]
/*  mfmaIndex:17  */
_ds_load_b64 v[vgprValuB_X1_I0+2:vgprValuB_X1_I0+2+1], v[vgprLocalReadAddrB] offset:6272 // L -> Reg lro=768 swapByteOffset=0 ti=16 vIdx=1 rIdx=0 oIdx=0 buffer=1 iui=0
_ds_load_b64 v[vgprValuB_X1_I0+4:vgprValuB_X1_I0+4+1], v[vgprLocalReadAddrB] offset:6400 // L -> Reg lro=768 swapByteOffset=0 ti=16 vIdx=2 rIdx=0 oIdx=0 buffer=1 iui=0
v_mfma_f64_16x16x4_f64 v[16+0:23+0], v[vgprValuB_X0_I0+2+0+0:vgprValuB_X0_I0+2+0+0+1], v[vgprG2LA+24+0:vgprG2LA+24+0+1], v[16:23]
/*  mfmaIndex:18  */
_ds_load_b64 v[vgprValuB_X1_I0+6:vgprValuB_X1_I0+6+1], v[vgprLocalReadAddrB] offset:6528 // L -> Reg lro=768 swapByteOffset=0 ti=16 vIdx=3 rIdx=0 oIdx=0 buffer=1 iui=0
/* localReadsVacancy: latencyLeft 3 */
v_mfma_f64_16x16x4_f64 v[32+0:39+0], v[vgprValuB_X0_I0+4+0+0:vgprValuB_X0_I0+4+0+0+1], v[vgprG2LA+24+0:vgprG2LA+24+0+1], v[32:39]
/*  mfmaIndex:19  */
/* localReadsVacancy: latencyLeft 5 */
v_mfma_f64_16x16x4_f64 v[48+0:55+0], v[vgprValuB_X0_I0+6+0+0:vgprValuB_X0_I0+6+0+0+1], v[vgprG2LA+24+0:vgprG2LA+24+0+1], v[48:55]
/*  mfmaIndex:20  */
	;; [unrolled: 3-line block ×4, first 2 shown]
/* sched write - iter 2 writesPerItem=1 */
s_waitcnt vmcnt(0)                                 // lgkmcnt=-1 vmcnt=0wait for global read before writing to local
_ds_store_b128 v[vgprLocalWriteAddrB], v[vgprG2LB+4:vgprG2LB+4+3] offset:4096 // lwoB_0_0_1_0 = (0*LSCB) + (1*LSPB)(*MT1J+PAD) = 4096
v_mfma_f64_16x16x4_f64 v[24+0:31+0], v[vgprValuB_X0_I0+2+0+0:vgprValuB_X0_I0+2+0+0+1], v[vgprG2LA+26+0:vgprG2LA+26+0+1], v[24:31]
/*  mfmaIndex:23  */
/* localReadsVacancy: latencyLeft 5 */

/* local write swap offsets a */

/* (EPS=1) local write swap internal offset -> 8192 */

/* local write swap offsets b */

/* (EPS=1) local write swap internal offset -> 8192 */

/* local read swap offsets a */

/* local read swap offsets b */
v_xor_b32 v[vgprLocalReadAddrB], 0x2000, v[vgprLocalReadAddrB] // swap Red Blk

/* local read init pointers a */

/* local read init pointers b */

/* localReadInitPointers */
v_mfma_f64_16x16x4_f64 v[8+0:15+0], v[vgprValuB_X0_I0+0+0+0:vgprValuB_X0_I0+0+0+0+1], v[vgprG2LA+26+0:vgprG2LA+26+0+1], v[8:15]
/* numPrefetchIter=0 */
/* dataAtIterA=1 numReadsIterA=3 skipReadsIterA=1 readsPerIterA=1 */
/* dataAtIterB=1 numReadsIterB=3 skipReadsIterB=1 readsPerIterB=4 */


/* iter 3 */

/*  grEndMfmaIndex:4, lwStartMfmaIndex:16, lwEndMfmaIndex:23  */
/*  numMfmaForLR:5, barrierMfmaIndex:26, LocalWritePerMfma:0.165 */
/*  mfmaIndex:24  */
s_waitcnt lgkmcnt(1)                               // lgkmcnt=0 vmcnt=-1wait for prior local read local write old=0, new=1 newLW=1 newLR=0
v_mfma_f64_16x16x4_f64 v[0+0:7+0], v[vgprValuB_X1_I0+0+0+0:vgprValuB_X1_I0+0+0+0+1], v[vgprG2LA+28+0:vgprG2LA+28+0+1], v[0:7]
/*  mfmaIndex:25  */
v_mfma_f64_16x16x4_f64 v[16+0:23+0], v[vgprValuB_X1_I0+2+0+0:vgprValuB_X1_I0+2+0+0+1], v[vgprG2LA+28+0:vgprG2LA+28+0+1], v[16:23]
s_setprio 0                                        // store optimization
/*  mfmaIndex:26  */
s_waitcnt lgkmcnt(0)                               // lgkmcnt=0 vmcnt=-13wait for local write
// Skip force waitcnt0
s_barrier //
v_mfma_f64_16x16x4_f64 v[32+0:39+0], v[vgprValuB_X1_I0+4+0+0:vgprValuB_X1_I0+4+0+0+1], v[vgprG2LA+28+0:vgprG2LA+28+0+1], v[32:39]
/*  mfmaIndex:27  */
s_setprio 3                                        // store optimization
_ds_load_b64 v[vgprValuB_X0_I0+0:vgprValuB_X0_I0+0+1], v[vgprLocalReadAddrB] offset:0 // L -> Reg lro=0 swapByteOffset=0 ti=16 vIdx=0 rIdx=0 oIdx=0 buffer=0 iui=0
_ds_load_b64 v[vgprValuB_X0_I0+2:vgprValuB_X0_I0+2+1], v[vgprLocalReadAddrB] offset:128 // L -> Reg lro=0 swapByteOffset=0 ti=16 vIdx=1 rIdx=0 oIdx=0 buffer=0 iui=0
v_mfma_f64_16x16x4_f64 v[48+0:55+0], v[vgprValuB_X1_I0+6+0+0:vgprValuB_X1_I0+6+0+0+1], v[vgprG2LA+28+0:vgprG2LA+28+0+1], v[48:55]
/*  mfmaIndex:28  */
_ds_load_b64 v[vgprValuB_X0_I0+4:vgprValuB_X0_I0+4+1], v[vgprLocalReadAddrB] offset:256 // L -> Reg lro=0 swapByteOffset=0 ti=16 vIdx=2 rIdx=0 oIdx=0 buffer=0 iui=0
_ds_load_b64 v[vgprValuB_X0_I0+6:vgprValuB_X0_I0+6+1], v[vgprLocalReadAddrB] offset:384 // L -> Reg lro=0 swapByteOffset=0 ti=16 vIdx=3 rIdx=0 oIdx=0 buffer=0 iui=0
v_mfma_f64_16x16x4_f64 v[8+0:15+0], v[vgprValuB_X1_I0+0+0+0:vgprValuB_X1_I0+0+0+0+1], v[vgprG2LA+30+0:vgprG2LA+30+0+1], v[8:15]
/*  mfmaIndex:29  */
v_mfma_f64_16x16x4_f64 v[24+0:31+0], v[vgprValuB_X1_I0+2+0+0:vgprValuB_X1_I0+2+0+0+1], v[vgprG2LA+30+0:vgprG2LA+30+0+1], v[24:31]
/*  mfmaIndex:30  */
	;; [unrolled: 2-line block ×3, first 2 shown]
v_mfma_f64_16x16x4_f64 v[56+0:63+0], v[vgprValuB_X1_I0+6+0+0:vgprValuB_X1_I0+6+0+0+1], v[vgprG2LA+30+0:vgprG2LA+30+0+1], v[56:63]
s_setprio 0                                        // store optimization
/* numPrefetchIter=1 */
/* dataAtIterA=2 numReadsIterA=3 skipReadsIterA=1 readsPerIterA=1 */
/* dataAtIterB=2 numReadsIterB=3 skipReadsIterB=1 readsPerIterB=4 */

s_branch label_0018                                // Skip even code
label_0017: // EvenStartNoGlobalLoadLoopOrd 


/* iter 0 */

s_waitcnt vmcnt(9)                                 // lgkmcnt=-1 vmcnt=9global read wait for DirectToVgpr

/*  grEndMfmaIndex:4, lwStartMfmaIndex:16, lwEndMfmaIndex:23  */
/*  numMfmaForLR:5, barrierMfmaIndex:26, LocalWritePerMfma:0.165 */
/*  mfmaIndex:0  */
s_waitcnt lgkmcnt(0)                               // lgkmcnt=0 vmcnt=-1wait for prior local read local write old=0, new=0 newLW=0 newLR=0
v_mfma_f64_16x16x4_f64 v[0+0:7+0], v[vgprValuB_X0_I0+0+0+0:vgprValuB_X0_I0+0+0+0+1], v[vgprG2LA+0+0:vgprG2LA+0+0+1], v[0:7]
/*  mfmaIndex:1  */
_ds_load_b64 v[vgprValuB_X1_I0+0:vgprValuB_X1_I0+0+1], v[vgprLocalReadAddrB] offset:2048 // L -> Reg lro=256 swapByteOffset=0 ti=16 vIdx=0 rIdx=0 oIdx=0 buffer=1 iui=0
_ds_load_b64 v[vgprValuB_X1_I0+2:vgprValuB_X1_I0+2+1], v[vgprLocalReadAddrB] offset:2176 // L -> Reg lro=256 swapByteOffset=0 ti=16 vIdx=1 rIdx=0 oIdx=0 buffer=1 iui=0

/* global read inc B loopL */
_v_add_co_u32  v[vgprGlobalReadAddrB+0+0], vcc, v[vgprGlobalReadAddrB+0+0], v[vgprGlobalReadIncsB+0+0] // gra += incBL (lower)
_v_addc_co_u32 v[vgprGlobalReadAddrB+0+1], vcc, v[vgprGlobalReadAddrB+0+1], v[vgprGlobalReadIncsB+0+1], vcc // gra += incBL (upper)
_v_add_co_u32  v[vgprGlobalReadAddrB+2+0], vcc, v[vgprGlobalReadAddrB+2+0], v[vgprGlobalReadIncsB+0+0] // gra += incBL (lower)
v_mfma_f64_16x16x4_f64 v[16+0:23+0], v[vgprValuB_X0_I0+2+0+0:vgprValuB_X0_I0+2+0+0+1], v[vgprG2LA+0+0:vgprG2LA+0+0+1], v[16:23]
/*  mfmaIndex:2  */
_ds_load_b64 v[vgprValuB_X1_I0+4:vgprValuB_X1_I0+4+1], v[vgprLocalReadAddrB] offset:2304 // L -> Reg lro=256 swapByteOffset=0 ti=16 vIdx=2 rIdx=0 oIdx=0 buffer=1 iui=0
_ds_load_b64 v[vgprValuB_X1_I0+6:vgprValuB_X1_I0+6+1], v[vgprLocalReadAddrB] offset:2432 // L -> Reg lro=256 swapByteOffset=0 ti=16 vIdx=3 rIdx=0 oIdx=0 buffer=1 iui=0
/* localReadsVacancy: latencyLeft 1 */
_v_addc_co_u32 v[vgprGlobalReadAddrB+2+1], vcc, v[vgprGlobalReadAddrB+2+1], v[vgprGlobalReadIncsB+0+1], vcc // gra += incBL (upper)

/* global read inc A loopL */
_v_add_co_u32  v[vgprGlobalReadAddrA+0+0], vcc, v[vgprGlobalReadAddrA+0+0], v[vgprGlobalReadIncsA+0+0] // gra += incAL (lower)
_v_addc_co_u32 v[vgprGlobalReadAddrA+0+1], vcc, v[vgprGlobalReadAddrA+0+1], v[vgprGlobalReadIncsA+0+1], vcc // gra += incAL (upper)
v_mfma_f64_16x16x4_f64 v[32+0:39+0], v[vgprValuB_X0_I0+4+0+0:vgprValuB_X0_I0+4+0+0+1], v[vgprG2LA+0+0:vgprG2LA+0+0+1], v[32:39]
/*  mfmaIndex:3  */
/* localReadsVacancy: latencyLeft 5 */
_v_add_co_u32  v[vgprGlobalReadAddrA+2+0], vcc, v[vgprGlobalReadAddrA+2+0], v[vgprGlobalReadIncsA+0+0] // gra += incAL (lower)
_v_addc_co_u32 v[vgprGlobalReadAddrA+2+1], vcc, v[vgprGlobalReadAddrA+2+1], v[vgprGlobalReadIncsA+0+1], vcc // gra += incAL (upper)
_v_add_co_u32  v[vgprGlobalReadAddrA+4+0], vcc, v[vgprGlobalReadAddrA+4+0], v[vgprGlobalReadIncsA+0+0] // gra += incAL (lower)
v_mfma_f64_16x16x4_f64 v[48+0:55+0], v[vgprValuB_X0_I0+6+0+0:vgprValuB_X0_I0+6+0+0+1], v[vgprG2LA+0+0:vgprG2LA+0+0+1], v[48:55]
/*  mfmaIndex:4  */
/* localReadsVacancy: latencyLeft 5 */
_v_addc_co_u32 v[vgprGlobalReadAddrA+4+1], vcc, v[vgprGlobalReadAddrA+4+1], v[vgprGlobalReadIncsA+0+1], vcc // gra += incAL (upper)
_v_add_co_u32  v[vgprGlobalReadAddrA+6+0], vcc, v[vgprGlobalReadAddrA+6+0], v[vgprGlobalReadIncsA+0+0] // gra += incAL (lower)
_v_addc_co_u32 v[vgprGlobalReadAddrA+6+1], vcc, v[vgprGlobalReadAddrA+6+1], v[vgprGlobalReadIncsA+0+1], vcc // gra += incAL (upper)
v_mfma_f64_16x16x4_f64 v[56+0:63+0], v[vgprValuB_X0_I0+6+0+0:vgprValuB_X0_I0+6+0+0+1], v[vgprG2LA+2+0:vgprG2LA+2+0+1], v[56:63]
/*  mfmaIndex:5  */
/* localReadsVacancy: latencyLeft 5 */
v_mfma_f64_16x16x4_f64 v[40+0:47+0], v[vgprValuB_X0_I0+4+0+0:vgprValuB_X0_I0+4+0+0+1], v[vgprG2LA+2+0:vgprG2LA+2+0+1], v[40:47]
/*  mfmaIndex:6  */
/* localReadsVacancy: latencyLeft 5 */
	;; [unrolled: 3-line block ×3, first 2 shown]
v_mfma_f64_16x16x4_f64 v[8+0:15+0], v[vgprValuB_X0_I0+0+0+0:vgprValuB_X0_I0+0+0+0+1], v[vgprG2LA+2+0:vgprG2LA+2+0+1], v[8:15]
/* numPrefetchIter=0 */
/* dataAtIterA=-1 numReadsIterA=1 skipReadsIterA=1 readsPerIterA=1 */
/* dataAtIterB=-1 numReadsIterB=1 skipReadsIterB=1 readsPerIterB=4 */


/* iter 1 */

s_waitcnt vmcnt(8)                                 // lgkmcnt=-1 vmcnt=8global read wait for DirectToVgpr

/*  grEndMfmaIndex:4, lwStartMfmaIndex:16, lwEndMfmaIndex:23  */
/*  numMfmaForLR:5, barrierMfmaIndex:26, LocalWritePerMfma:0.165 */
/*  mfmaIndex:8  */
_ds_load_b64 v[vgprValuB_X0_I0+0:vgprValuB_X0_I0+0+1], v[vgprLocalReadAddrB] offset:4096 // L -> Reg lro=512 swapByteOffset=0 ti=16 vIdx=0 rIdx=0 oIdx=0 buffer=0 iui=0
_ds_load_b64 v[vgprValuB_X0_I0+2:vgprValuB_X0_I0+2+1], v[vgprLocalReadAddrB] offset:4224 // L -> Reg lro=512 swapByteOffset=0 ti=16 vIdx=1 rIdx=0 oIdx=0 buffer=0 iui=0
s_waitcnt lgkmcnt(2)                               // lgkmcnt=0 vmcnt=-1wait for prior local read local write old=0, new=2 newLW=0 newLR=2
v_mfma_f64_16x16x4_f64 v[0+0:7+0], v[vgprValuB_X1_I0+0+0+0:vgprValuB_X1_I0+0+0+0+1], v[vgprG2LA+4+0:vgprG2LA+4+0+1], v[0:7]
/*  mfmaIndex:9  */
_ds_load_b64 v[vgprValuB_X0_I0+4:vgprValuB_X0_I0+4+1], v[vgprLocalReadAddrB] offset:4352 // L -> Reg lro=512 swapByteOffset=0 ti=16 vIdx=2 rIdx=0 oIdx=0 buffer=0 iui=0
_ds_load_b64 v[vgprValuB_X0_I0+6:vgprValuB_X0_I0+6+1], v[vgprLocalReadAddrB] offset:4480 // L -> Reg lro=512 swapByteOffset=0 ti=16 vIdx=3 rIdx=0 oIdx=0 buffer=0 iui=0
/* localReadsVacancy: latencyLeft 1 */
v_mfma_f64_16x16x4_f64 v[16+0:23+0], v[vgprValuB_X1_I0+2+0+0:vgprValuB_X1_I0+2+0+0+1], v[vgprG2LA+4+0:vgprG2LA+4+0+1], v[16:23]
/*  mfmaIndex:10  */
/* localReadsVacancy: latencyLeft 5 */
v_mfma_f64_16x16x4_f64 v[32+0:39+0], v[vgprValuB_X1_I0+4+0+0:vgprValuB_X1_I0+4+0+0+1], v[vgprG2LA+4+0:vgprG2LA+4+0+1], v[32:39]
/*  mfmaIndex:11  */
	;; [unrolled: 3-line block ×6, first 2 shown]
/* localReadsVacancy: latencyLeft 5 */
v_mfma_f64_16x16x4_f64 v[8+0:15+0], v[vgprValuB_X1_I0+0+0+0:vgprValuB_X1_I0+0+0+0+1], v[vgprG2LA+6+0:vgprG2LA+6+0+1], v[8:15]
/* numPrefetchIter=0 */
/* dataAtIterA=0 numReadsIterA=2 skipReadsIterA=1 readsPerIterA=1 */
/* dataAtIterB=0 numReadsIterB=2 skipReadsIterB=1 readsPerIterB=4 */


/* iter 2 (reset local read pointers iteration)  (swap and reset local write pointers iteration)  (swap local read pointers iteration)  */

s_waitcnt vmcnt(7)                                 // lgkmcnt=-1 vmcnt=7global read wait for DirectToVgpr

/*  grEndMfmaIndex:4, lwStartMfmaIndex:16, lwEndMfmaIndex:23  */
/*  numMfmaForLR:5, barrierMfmaIndex:26, LocalWritePerMfma:0.165 */
/*  mfmaIndex:16  */
_ds_load_b64 v[vgprValuB_X1_I0+0:vgprValuB_X1_I0+0+1], v[vgprLocalReadAddrB] offset:6144 // L -> Reg lro=768 swapByteOffset=0 ti=16 vIdx=0 rIdx=0 oIdx=0 buffer=1 iui=0
s_setprio 3                                        // store optimization
/* sched write - iter 2 writesPerItem=1 */
s_waitcnt vmcnt(0)                                 // lgkmcnt=-1 vmcnt=0wait for global read before writing to local
_ds_store_b128 v[vgprLocalWriteAddrB], v[vgprG2LB+0:vgprG2LB+0+3] offset:0 // lwoB_0_0_0_0 = (0*LSCB) + (0*LSPB)(*MT1J+PAD) = 0
s_waitcnt lgkmcnt(2)                               // lgkmcnt=0 vmcnt=-1wait for prior local read local write old=0, new=2 newLW=1 newLR=1
v_mfma_f64_16x16x4_f64 v[0+0:7+0], v[vgprValuB_X0_I0+0+0+0:vgprValuB_X0_I0+0+0+0+1], v[vgprG2LA+8+0:vgprG2LA+8+0+1], v[0:7]
/*  mfmaIndex:17  */
_ds_load_b64 v[vgprValuB_X1_I0+2:vgprValuB_X1_I0+2+1], v[vgprLocalReadAddrB] offset:6272 // L -> Reg lro=768 swapByteOffset=0 ti=16 vIdx=1 rIdx=0 oIdx=0 buffer=1 iui=0
_ds_load_b64 v[vgprValuB_X1_I0+4:vgprValuB_X1_I0+4+1], v[vgprLocalReadAddrB] offset:6400 // L -> Reg lro=768 swapByteOffset=0 ti=16 vIdx=2 rIdx=0 oIdx=0 buffer=1 iui=0
v_mfma_f64_16x16x4_f64 v[16+0:23+0], v[vgprValuB_X0_I0+2+0+0:vgprValuB_X0_I0+2+0+0+1], v[vgprG2LA+8+0:vgprG2LA+8+0+1], v[16:23]
/*  mfmaIndex:18  */
_ds_load_b64 v[vgprValuB_X1_I0+6:vgprValuB_X1_I0+6+1], v[vgprLocalReadAddrB] offset:6528 // L -> Reg lro=768 swapByteOffset=0 ti=16 vIdx=3 rIdx=0 oIdx=0 buffer=1 iui=0
/* localReadsVacancy: latencyLeft 3 */
v_mfma_f64_16x16x4_f64 v[32+0:39+0], v[vgprValuB_X0_I0+4+0+0:vgprValuB_X0_I0+4+0+0+1], v[vgprG2LA+8+0:vgprG2LA+8+0+1], v[32:39]
/*  mfmaIndex:19  */
/* localReadsVacancy: latencyLeft 5 */
v_mfma_f64_16x16x4_f64 v[48+0:55+0], v[vgprValuB_X0_I0+6+0+0:vgprValuB_X0_I0+6+0+0+1], v[vgprG2LA+8+0:vgprG2LA+8+0+1], v[48:55]
/*  mfmaIndex:20  */
	;; [unrolled: 3-line block ×4, first 2 shown]
/* sched write - iter 2 writesPerItem=1 */
s_waitcnt vmcnt(0)                                 // lgkmcnt=-1 vmcnt=0wait for global read before writing to local
_ds_store_b128 v[vgprLocalWriteAddrB], v[vgprG2LB+4:vgprG2LB+4+3] offset:4096 // lwoB_0_0_1_0 = (0*LSCB) + (1*LSPB)(*MT1J+PAD) = 4096
v_mfma_f64_16x16x4_f64 v[24+0:31+0], v[vgprValuB_X0_I0+2+0+0:vgprValuB_X0_I0+2+0+0+1], v[vgprG2LA+10+0:vgprG2LA+10+0+1], v[24:31]
/*  mfmaIndex:23  */
/* localReadsVacancy: latencyLeft 5 */

/* local write swap offsets a */

/* (EPS=1) local write swap internal offset -> 8192 */

/* local write swap offsets b */

/* (EPS=1) local write swap internal offset -> 8192 */

/* local read swap offsets a */

/* local read swap offsets b */
v_xor_b32 v[vgprLocalReadAddrB], 0x2000, v[vgprLocalReadAddrB] // swap Red Blk

/* local read init pointers a */

/* local read init pointers b */

/* localReadInitPointers */
v_mfma_f64_16x16x4_f64 v[8+0:15+0], v[vgprValuB_X0_I0+0+0+0:vgprValuB_X0_I0+0+0+0+1], v[vgprG2LA+10+0:vgprG2LA+10+0+1], v[8:15]
/* numPrefetchIter=0 */
/* dataAtIterA=1 numReadsIterA=3 skipReadsIterA=1 readsPerIterA=1 */
/* dataAtIterB=1 numReadsIterB=3 skipReadsIterB=1 readsPerIterB=4 */


/* iter 3 */

/*  grEndMfmaIndex:4, lwStartMfmaIndex:16, lwEndMfmaIndex:23  */
/*  numMfmaForLR:5, barrierMfmaIndex:26, LocalWritePerMfma:0.165 */
/*  mfmaIndex:24  */
s_waitcnt lgkmcnt(1)                               // lgkmcnt=0 vmcnt=-1wait for prior local read local write old=0, new=1 newLW=1 newLR=0
v_mfma_f64_16x16x4_f64 v[0+0:7+0], v[vgprValuB_X1_I0+0+0+0:vgprValuB_X1_I0+0+0+0+1], v[vgprG2LA+12+0:vgprG2LA+12+0+1], v[0:7]
/*  mfmaIndex:25  */
v_mfma_f64_16x16x4_f64 v[16+0:23+0], v[vgprValuB_X1_I0+2+0+0:vgprValuB_X1_I0+2+0+0+1], v[vgprG2LA+12+0:vgprG2LA+12+0+1], v[16:23]
s_setprio 0                                        // store optimization
/*  mfmaIndex:26  */
s_waitcnt lgkmcnt(0)                               // lgkmcnt=0 vmcnt=-13wait for local write
// Skip force waitcnt0
s_barrier //
v_mfma_f64_16x16x4_f64 v[32+0:39+0], v[vgprValuB_X1_I0+4+0+0:vgprValuB_X1_I0+4+0+0+1], v[vgprG2LA+12+0:vgprG2LA+12+0+1], v[32:39]
/*  mfmaIndex:27  */
s_setprio 3                                        // store optimization
_ds_load_b64 v[vgprValuB_X0_I0+0:vgprValuB_X0_I0+0+1], v[vgprLocalReadAddrB] offset:0 // L -> Reg lro=0 swapByteOffset=0 ti=16 vIdx=0 rIdx=0 oIdx=0 buffer=0 iui=0
_ds_load_b64 v[vgprValuB_X0_I0+2:vgprValuB_X0_I0+2+1], v[vgprLocalReadAddrB] offset:128 // L -> Reg lro=0 swapByteOffset=0 ti=16 vIdx=1 rIdx=0 oIdx=0 buffer=0 iui=0
v_mfma_f64_16x16x4_f64 v[48+0:55+0], v[vgprValuB_X1_I0+6+0+0:vgprValuB_X1_I0+6+0+0+1], v[vgprG2LA+12+0:vgprG2LA+12+0+1], v[48:55]
/*  mfmaIndex:28  */
_ds_load_b64 v[vgprValuB_X0_I0+4:vgprValuB_X0_I0+4+1], v[vgprLocalReadAddrB] offset:256 // L -> Reg lro=0 swapByteOffset=0 ti=16 vIdx=2 rIdx=0 oIdx=0 buffer=0 iui=0
_ds_load_b64 v[vgprValuB_X0_I0+6:vgprValuB_X0_I0+6+1], v[vgprLocalReadAddrB] offset:384 // L -> Reg lro=0 swapByteOffset=0 ti=16 vIdx=3 rIdx=0 oIdx=0 buffer=0 iui=0
v_mfma_f64_16x16x4_f64 v[8+0:15+0], v[vgprValuB_X1_I0+0+0+0:vgprValuB_X1_I0+0+0+0+1], v[vgprG2LA+14+0:vgprG2LA+14+0+1], v[8:15]
/*  mfmaIndex:29  */
v_mfma_f64_16x16x4_f64 v[24+0:31+0], v[vgprValuB_X1_I0+2+0+0:vgprValuB_X1_I0+2+0+0+1], v[vgprG2LA+14+0:vgprG2LA+14+0+1], v[24:31]
/*  mfmaIndex:30  */
	;; [unrolled: 2-line block ×3, first 2 shown]
v_mfma_f64_16x16x4_f64 v[56+0:63+0], v[vgprValuB_X1_I0+6+0+0:vgprValuB_X1_I0+6+0+0+1], v[vgprG2LA+14+0:vgprG2LA+14+0+1], v[56:63]
s_setprio 0                                        // store optimization
/* numPrefetchIter=1 */
/* dataAtIterA=2 numReadsIterA=3 skipReadsIterA=1 readsPerIterA=1 */
/* dataAtIterB=2 numReadsIterB=3 skipReadsIterB=1 readsPerIterB=4 */

label_0018: // EvenEndNoGlobalLoadLoopOrd 

label_0014:


/******************************************/
/* Ord. NoLoadLoop - Begin                                      */
/******************************************/


s_and_b32 s0, s[sgprOrigLoopCounter], 1            // test if OrigLoopCounter is Odd ?
s_cbranch_scc0 label_0019                          // Skip odd code if OrigLoopCounter is Even


	;; [unrolled: 1-line block ×3, first 2 shown]
/* iter 0 (last unrolled loop) */

s_waitcnt vmcnt(3)                                 // lgkmcnt=-1 vmcnt=3global read wait for DirectToVgpr

/*  grEndMfmaIndex:0, lwStartMfmaIndex:23, lwEndMfmaIndex:23  */
/*  numMfmaForLR:5, barrierMfmaIndex:26, LocalWritePerMfma:0.165 */
/*  mfmaIndex:0  */
s_waitcnt lgkmcnt(0)                               // lgkmcnt=0 vmcnt=-1wait for prior local read local write old=0, new=0 newLW=0 newLR=0
v_mfma_f64_16x16x4_f64 v[0+0:7+0], v[vgprValuB_X0_I0+0+0+0:vgprValuB_X0_I0+0+0+0+1], v[vgprG2LA+0+0:vgprG2LA+0+0+1], v[0:7]
/*  mfmaIndex:1  */
_ds_load_b64 v[vgprValuB_X1_I0+0:vgprValuB_X1_I0+0+1], v[vgprLocalReadAddrB] offset:2048 // L -> Reg lro=256 swapByteOffset=0 ti=16 vIdx=0 rIdx=0 oIdx=0 buffer=1 iui=0
_ds_load_b64 v[vgprValuB_X1_I0+2:vgprValuB_X1_I0+2+1], v[vgprLocalReadAddrB] offset:2176 // L -> Reg lro=256 swapByteOffset=0 ti=16 vIdx=1 rIdx=0 oIdx=0 buffer=1 iui=0
v_mfma_f64_16x16x4_f64 v[16+0:23+0], v[vgprValuB_X0_I0+2+0+0:vgprValuB_X0_I0+2+0+0+1], v[vgprG2LA+0+0:vgprG2LA+0+0+1], v[16:23]
/*  mfmaIndex:2  */
_ds_load_b64 v[vgprValuB_X1_I0+4:vgprValuB_X1_I0+4+1], v[vgprLocalReadAddrB] offset:2304 // L -> Reg lro=256 swapByteOffset=0 ti=16 vIdx=2 rIdx=0 oIdx=0 buffer=1 iui=0
_ds_load_b64 v[vgprValuB_X1_I0+6:vgprValuB_X1_I0+6+1], v[vgprLocalReadAddrB] offset:2432 // L -> Reg lro=256 swapByteOffset=0 ti=16 vIdx=3 rIdx=0 oIdx=0 buffer=1 iui=0
/* localReadsVacancy: latencyLeft 1 */
v_mfma_f64_16x16x4_f64 v[32+0:39+0], v[vgprValuB_X0_I0+4+0+0:vgprValuB_X0_I0+4+0+0+1], v[vgprG2LA+0+0:vgprG2LA+0+0+1], v[32:39]
/*  mfmaIndex:3  */
/* localReadsVacancy: latencyLeft 5 */
v_mfma_f64_16x16x4_f64 v[48+0:55+0], v[vgprValuB_X0_I0+6+0+0:vgprValuB_X0_I0+6+0+0+1], v[vgprG2LA+0+0:vgprG2LA+0+0+1], v[48:55]
/*  mfmaIndex:4  */
	;; [unrolled: 3-line block ×5, first 2 shown]
/* localReadsVacancy: latencyLeft 5 */
v_mfma_f64_16x16x4_f64 v[8+0:15+0], v[vgprValuB_X0_I0+0+0+0:vgprValuB_X0_I0+0+0+0+1], v[vgprG2LA+2+0:vgprG2LA+2+0+1], v[8:15]
/* numPrefetchIter=0 */
/* dataAtIterA=-1 numReadsIterA=1 skipReadsIterA=1 readsPerIterA=1 */
/* dataAtIterB=-1 numReadsIterB=1 skipReadsIterB=1 readsPerIterB=4 */


/* iter 1 (last unrolled loop) */

s_waitcnt vmcnt(2)                                 // lgkmcnt=-1 vmcnt=2global read wait for DirectToVgpr

/*  grEndMfmaIndex:0, lwStartMfmaIndex:23, lwEndMfmaIndex:23  */
/*  numMfmaForLR:5, barrierMfmaIndex:26, LocalWritePerMfma:0.165 */
/*  mfmaIndex:8  */
_ds_load_b64 v[vgprValuB_X0_I0+0:vgprValuB_X0_I0+0+1], v[vgprLocalReadAddrB] offset:4096 // L -> Reg lro=512 swapByteOffset=0 ti=16 vIdx=0 rIdx=0 oIdx=0 buffer=0 iui=0
_ds_load_b64 v[vgprValuB_X0_I0+2:vgprValuB_X0_I0+2+1], v[vgprLocalReadAddrB] offset:4224 // L -> Reg lro=512 swapByteOffset=0 ti=16 vIdx=1 rIdx=0 oIdx=0 buffer=0 iui=0
s_waitcnt lgkmcnt(2)                               // lgkmcnt=0 vmcnt=-1wait for prior local read local write old=0, new=2 newLW=0 newLR=2
v_mfma_f64_16x16x4_f64 v[0+0:7+0], v[vgprValuB_X1_I0+0+0+0:vgprValuB_X1_I0+0+0+0+1], v[vgprG2LA+4+0:vgprG2LA+4+0+1], v[0:7]
/*  mfmaIndex:9  */
_ds_load_b64 v[vgprValuB_X0_I0+4:vgprValuB_X0_I0+4+1], v[vgprLocalReadAddrB] offset:4352 // L -> Reg lro=512 swapByteOffset=0 ti=16 vIdx=2 rIdx=0 oIdx=0 buffer=0 iui=0
_ds_load_b64 v[vgprValuB_X0_I0+6:vgprValuB_X0_I0+6+1], v[vgprLocalReadAddrB] offset:4480 // L -> Reg lro=512 swapByteOffset=0 ti=16 vIdx=3 rIdx=0 oIdx=0 buffer=0 iui=0
/* localReadsVacancy: latencyLeft 1 */
v_mfma_f64_16x16x4_f64 v[16+0:23+0], v[vgprValuB_X1_I0+2+0+0:vgprValuB_X1_I0+2+0+0+1], v[vgprG2LA+4+0:vgprG2LA+4+0+1], v[16:23]
/*  mfmaIndex:10  */
/* localReadsVacancy: latencyLeft 5 */
v_mfma_f64_16x16x4_f64 v[32+0:39+0], v[vgprValuB_X1_I0+4+0+0:vgprValuB_X1_I0+4+0+0+1], v[vgprG2LA+4+0:vgprG2LA+4+0+1], v[32:39]
/*  mfmaIndex:11  */
	;; [unrolled: 3-line block ×6, first 2 shown]
/* localReadsVacancy: latencyLeft 5 */
v_mfma_f64_16x16x4_f64 v[8+0:15+0], v[vgprValuB_X1_I0+0+0+0:vgprValuB_X1_I0+0+0+0+1], v[vgprG2LA+6+0:vgprG2LA+6+0+1], v[8:15]
/* numPrefetchIter=0 */
/* dataAtIterA=0 numReadsIterA=2 skipReadsIterA=1 readsPerIterA=1 */
/* dataAtIterB=0 numReadsIterB=2 skipReadsIterB=1 readsPerIterB=4 */


/* iter 2 (last unrolled loop) */

s_waitcnt vmcnt(1)                                 // lgkmcnt=-1 vmcnt=1global read wait for DirectToVgpr

/*  grEndMfmaIndex:0, lwStartMfmaIndex:23, lwEndMfmaIndex:23  */
/*  numMfmaForLR:5, barrierMfmaIndex:26, LocalWritePerMfma:0.165 */
/*  mfmaIndex:16  */
_ds_load_b64 v[vgprValuB_X1_I0+0:vgprValuB_X1_I0+0+1], v[vgprLocalReadAddrB] offset:6144 // L -> Reg lro=768 swapByteOffset=0 ti=16 vIdx=0 rIdx=0 oIdx=0 buffer=1 iui=0
_ds_load_b64 v[vgprValuB_X1_I0+2:vgprValuB_X1_I0+2+1], v[vgprLocalReadAddrB] offset:6272 // L -> Reg lro=768 swapByteOffset=0 ti=16 vIdx=1 rIdx=0 oIdx=0 buffer=1 iui=0
s_waitcnt lgkmcnt(2)                               // lgkmcnt=0 vmcnt=-1wait for prior local read local write old=0, new=2 newLW=0 newLR=2
v_mfma_f64_16x16x4_f64 v[0+0:7+0], v[vgprValuB_X0_I0+0+0+0:vgprValuB_X0_I0+0+0+0+1], v[vgprG2LA+8+0:vgprG2LA+8+0+1], v[0:7]
/*  mfmaIndex:17  */
_ds_load_b64 v[vgprValuB_X1_I0+4:vgprValuB_X1_I0+4+1], v[vgprLocalReadAddrB] offset:6400 // L -> Reg lro=768 swapByteOffset=0 ti=16 vIdx=2 rIdx=0 oIdx=0 buffer=1 iui=0
_ds_load_b64 v[vgprValuB_X1_I0+6:vgprValuB_X1_I0+6+1], v[vgprLocalReadAddrB] offset:6528 // L -> Reg lro=768 swapByteOffset=0 ti=16 vIdx=3 rIdx=0 oIdx=0 buffer=1 iui=0
/* localReadsVacancy: latencyLeft 1 */
v_mfma_f64_16x16x4_f64 v[16+0:23+0], v[vgprValuB_X0_I0+2+0+0:vgprValuB_X0_I0+2+0+0+1], v[vgprG2LA+8+0:vgprG2LA+8+0+1], v[16:23]
/*  mfmaIndex:18  */
/* localReadsVacancy: latencyLeft 5 */
v_mfma_f64_16x16x4_f64 v[32+0:39+0], v[vgprValuB_X0_I0+4+0+0:vgprValuB_X0_I0+4+0+0+1], v[vgprG2LA+8+0:vgprG2LA+8+0+1], v[32:39]
/*  mfmaIndex:19  */
	;; [unrolled: 3-line block ×6, first 2 shown]
/* localReadsVacancy: latencyLeft 5 */
s_setprio 3                                        // store optimization
v_mfma_f64_16x16x4_f64 v[8+0:15+0], v[vgprValuB_X0_I0+0+0+0:vgprValuB_X0_I0+0+0+0+1], v[vgprG2LA+10+0:vgprG2LA+10+0+1], v[8:15]
/* numPrefetchIter=0 */
/* dataAtIterA=1 numReadsIterA=3 skipReadsIterA=1 readsPerIterA=1 */
/* dataAtIterB=1 numReadsIterB=3 skipReadsIterB=1 readsPerIterB=4 */


/* iter 3 (last unrolled loop) */

s_waitcnt vmcnt(0)                                 // lgkmcnt=-1 vmcnt=0global read wait for DirectToVgpr

/*  grEndMfmaIndex:0, lwStartMfmaIndex:23, lwEndMfmaIndex:23  */
/*  numMfmaForLR:5, barrierMfmaIndex:26, LocalWritePerMfma:0.165 */
/*  mfmaIndex:24  */
s_waitcnt lgkmcnt(0)                               // lgkmcnt=0 vmcnt=-1wait for prior local read local write old=0, new=0 newLW=0 newLR=0
v_mfma_f64_16x16x4_f64 v[0+0:7+0], v[vgprValuB_X1_I0+0+0+0:vgprValuB_X1_I0+0+0+0+1], v[vgprG2LA+12+0:vgprG2LA+12+0+1], v[0:7]
/*  mfmaIndex:25  */
v_mfma_f64_16x16x4_f64 v[16+0:23+0], v[vgprValuB_X1_I0+2+0+0:vgprValuB_X1_I0+2+0+0+1], v[vgprG2LA+12+0:vgprG2LA+12+0+1], v[16:23]
s_setprio 0                                        // store optimization
/*  mfmaIndex:26  */
v_mfma_f64_16x16x4_f64 v[32+0:39+0], v[vgprValuB_X1_I0+4+0+0:vgprValuB_X1_I0+4+0+0+1], v[vgprG2LA+12+0:vgprG2LA+12+0+1], v[32:39]
/*  mfmaIndex:27  */
s_setprio 3                                        // store optimization
v_mfma_f64_16x16x4_f64 v[48+0:55+0], v[vgprValuB_X1_I0+6+0+0:vgprValuB_X1_I0+6+0+0+1], v[vgprG2LA+12+0:vgprG2LA+12+0+1], v[48:55]
/*  mfmaIndex:28  */
v_mfma_f64_16x16x4_f64 v[8+0:15+0], v[vgprValuB_X1_I0+0+0+0:vgprValuB_X1_I0+0+0+0+1], v[vgprG2LA+14+0:vgprG2LA+14+0+1], v[8:15]
/*  mfmaIndex:29  */
	;; [unrolled: 2-line block ×4, first 2 shown]
v_mfma_f64_16x16x4_f64 v[56+0:63+0], v[vgprValuB_X1_I0+6+0+0:vgprValuB_X1_I0+6+0+0+1], v[vgprG2LA+14+0:vgprG2LA+14+0+1], v[56:63]
/* numPrefetchIter=0 */
/* dataAtIterA=2 numReadsIterA=3 skipReadsIterA=0 readsPerIterA=1 */
/* dataAtIterB=2 numReadsIterB=3 skipReadsIterB=0 readsPerIterB=4 */

s_branch label_0020                                // Skip even code
label_0019: // EvenStartNoLoadLoopOrd 


	;; [unrolled: 1-line block ×3, first 2 shown]
/* iter 0 (last unrolled loop) */

s_waitcnt vmcnt(3)                                 // lgkmcnt=-1 vmcnt=3global read wait for DirectToVgpr

/*  grEndMfmaIndex:0, lwStartMfmaIndex:23, lwEndMfmaIndex:23  */
/*  numMfmaForLR:5, barrierMfmaIndex:26, LocalWritePerMfma:0.165 */
/*  mfmaIndex:0  */
s_waitcnt lgkmcnt(0)                               // lgkmcnt=0 vmcnt=-1wait for prior local read local write old=0, new=0 newLW=0 newLR=0
v_mfma_f64_16x16x4_f64 v[0+0:7+0], v[vgprValuB_X0_I0+0+0+0:vgprValuB_X0_I0+0+0+0+1], v[vgprG2LA+16+0:vgprG2LA+16+0+1], v[0:7]
/*  mfmaIndex:1  */
_ds_load_b64 v[vgprValuB_X1_I0+0:vgprValuB_X1_I0+0+1], v[vgprLocalReadAddrB] offset:2048 // L -> Reg lro=256 swapByteOffset=0 ti=16 vIdx=0 rIdx=0 oIdx=0 buffer=1 iui=0
_ds_load_b64 v[vgprValuB_X1_I0+2:vgprValuB_X1_I0+2+1], v[vgprLocalReadAddrB] offset:2176 // L -> Reg lro=256 swapByteOffset=0 ti=16 vIdx=1 rIdx=0 oIdx=0 buffer=1 iui=0
v_mfma_f64_16x16x4_f64 v[16+0:23+0], v[vgprValuB_X0_I0+2+0+0:vgprValuB_X0_I0+2+0+0+1], v[vgprG2LA+16+0:vgprG2LA+16+0+1], v[16:23]
/*  mfmaIndex:2  */
_ds_load_b64 v[vgprValuB_X1_I0+4:vgprValuB_X1_I0+4+1], v[vgprLocalReadAddrB] offset:2304 // L -> Reg lro=256 swapByteOffset=0 ti=16 vIdx=2 rIdx=0 oIdx=0 buffer=1 iui=0
_ds_load_b64 v[vgprValuB_X1_I0+6:vgprValuB_X1_I0+6+1], v[vgprLocalReadAddrB] offset:2432 // L -> Reg lro=256 swapByteOffset=0 ti=16 vIdx=3 rIdx=0 oIdx=0 buffer=1 iui=0
/* localReadsVacancy: latencyLeft 1 */
v_mfma_f64_16x16x4_f64 v[32+0:39+0], v[vgprValuB_X0_I0+4+0+0:vgprValuB_X0_I0+4+0+0+1], v[vgprG2LA+16+0:vgprG2LA+16+0+1], v[32:39]
/*  mfmaIndex:3  */
/* localReadsVacancy: latencyLeft 5 */
v_mfma_f64_16x16x4_f64 v[48+0:55+0], v[vgprValuB_X0_I0+6+0+0:vgprValuB_X0_I0+6+0+0+1], v[vgprG2LA+16+0:vgprG2LA+16+0+1], v[48:55]
/*  mfmaIndex:4  */
	;; [unrolled: 3-line block ×5, first 2 shown]
/* localReadsVacancy: latencyLeft 5 */
v_mfma_f64_16x16x4_f64 v[8+0:15+0], v[vgprValuB_X0_I0+0+0+0:vgprValuB_X0_I0+0+0+0+1], v[vgprG2LA+18+0:vgprG2LA+18+0+1], v[8:15]
/* numPrefetchIter=0 */
/* dataAtIterA=-1 numReadsIterA=1 skipReadsIterA=1 readsPerIterA=1 */
/* dataAtIterB=-1 numReadsIterB=1 skipReadsIterB=1 readsPerIterB=4 */


/* iter 1 (last unrolled loop) */

s_waitcnt vmcnt(2)                                 // lgkmcnt=-1 vmcnt=2global read wait for DirectToVgpr

/*  grEndMfmaIndex:0, lwStartMfmaIndex:23, lwEndMfmaIndex:23  */
/*  numMfmaForLR:5, barrierMfmaIndex:26, LocalWritePerMfma:0.165 */
/*  mfmaIndex:8  */
_ds_load_b64 v[vgprValuB_X0_I0+0:vgprValuB_X0_I0+0+1], v[vgprLocalReadAddrB] offset:4096 // L -> Reg lro=512 swapByteOffset=0 ti=16 vIdx=0 rIdx=0 oIdx=0 buffer=0 iui=0
_ds_load_b64 v[vgprValuB_X0_I0+2:vgprValuB_X0_I0+2+1], v[vgprLocalReadAddrB] offset:4224 // L -> Reg lro=512 swapByteOffset=0 ti=16 vIdx=1 rIdx=0 oIdx=0 buffer=0 iui=0
s_waitcnt lgkmcnt(2)                               // lgkmcnt=0 vmcnt=-1wait for prior local read local write old=0, new=2 newLW=0 newLR=2
v_mfma_f64_16x16x4_f64 v[0+0:7+0], v[vgprValuB_X1_I0+0+0+0:vgprValuB_X1_I0+0+0+0+1], v[vgprG2LA+20+0:vgprG2LA+20+0+1], v[0:7]
/*  mfmaIndex:9  */
_ds_load_b64 v[vgprValuB_X0_I0+4:vgprValuB_X0_I0+4+1], v[vgprLocalReadAddrB] offset:4352 // L -> Reg lro=512 swapByteOffset=0 ti=16 vIdx=2 rIdx=0 oIdx=0 buffer=0 iui=0
_ds_load_b64 v[vgprValuB_X0_I0+6:vgprValuB_X0_I0+6+1], v[vgprLocalReadAddrB] offset:4480 // L -> Reg lro=512 swapByteOffset=0 ti=16 vIdx=3 rIdx=0 oIdx=0 buffer=0 iui=0
/* localReadsVacancy: latencyLeft 1 */
v_mfma_f64_16x16x4_f64 v[16+0:23+0], v[vgprValuB_X1_I0+2+0+0:vgprValuB_X1_I0+2+0+0+1], v[vgprG2LA+20+0:vgprG2LA+20+0+1], v[16:23]
/*  mfmaIndex:10  */
/* localReadsVacancy: latencyLeft 5 */
v_mfma_f64_16x16x4_f64 v[32+0:39+0], v[vgprValuB_X1_I0+4+0+0:vgprValuB_X1_I0+4+0+0+1], v[vgprG2LA+20+0:vgprG2LA+20+0+1], v[32:39]
/*  mfmaIndex:11  */
	;; [unrolled: 3-line block ×6, first 2 shown]
/* localReadsVacancy: latencyLeft 5 */
v_mfma_f64_16x16x4_f64 v[8+0:15+0], v[vgprValuB_X1_I0+0+0+0:vgprValuB_X1_I0+0+0+0+1], v[vgprG2LA+22+0:vgprG2LA+22+0+1], v[8:15]
/* numPrefetchIter=0 */
/* dataAtIterA=0 numReadsIterA=2 skipReadsIterA=1 readsPerIterA=1 */
/* dataAtIterB=0 numReadsIterB=2 skipReadsIterB=1 readsPerIterB=4 */


/* iter 2 (last unrolled loop) */

s_waitcnt vmcnt(1)                                 // lgkmcnt=-1 vmcnt=1global read wait for DirectToVgpr

/*  grEndMfmaIndex:0, lwStartMfmaIndex:23, lwEndMfmaIndex:23  */
/*  numMfmaForLR:5, barrierMfmaIndex:26, LocalWritePerMfma:0.165 */
/*  mfmaIndex:16  */
_ds_load_b64 v[vgprValuB_X1_I0+0:vgprValuB_X1_I0+0+1], v[vgprLocalReadAddrB] offset:6144 // L -> Reg lro=768 swapByteOffset=0 ti=16 vIdx=0 rIdx=0 oIdx=0 buffer=1 iui=0
_ds_load_b64 v[vgprValuB_X1_I0+2:vgprValuB_X1_I0+2+1], v[vgprLocalReadAddrB] offset:6272 // L -> Reg lro=768 swapByteOffset=0 ti=16 vIdx=1 rIdx=0 oIdx=0 buffer=1 iui=0
s_waitcnt lgkmcnt(2)                               // lgkmcnt=0 vmcnt=-1wait for prior local read local write old=0, new=2 newLW=0 newLR=2
v_mfma_f64_16x16x4_f64 v[0+0:7+0], v[vgprValuB_X0_I0+0+0+0:vgprValuB_X0_I0+0+0+0+1], v[vgprG2LA+24+0:vgprG2LA+24+0+1], v[0:7]
/*  mfmaIndex:17  */
_ds_load_b64 v[vgprValuB_X1_I0+4:vgprValuB_X1_I0+4+1], v[vgprLocalReadAddrB] offset:6400 // L -> Reg lro=768 swapByteOffset=0 ti=16 vIdx=2 rIdx=0 oIdx=0 buffer=1 iui=0
_ds_load_b64 v[vgprValuB_X1_I0+6:vgprValuB_X1_I0+6+1], v[vgprLocalReadAddrB] offset:6528 // L -> Reg lro=768 swapByteOffset=0 ti=16 vIdx=3 rIdx=0 oIdx=0 buffer=1 iui=0
/* localReadsVacancy: latencyLeft 1 */
v_mfma_f64_16x16x4_f64 v[16+0:23+0], v[vgprValuB_X0_I0+2+0+0:vgprValuB_X0_I0+2+0+0+1], v[vgprG2LA+24+0:vgprG2LA+24+0+1], v[16:23]
/*  mfmaIndex:18  */
/* localReadsVacancy: latencyLeft 5 */
v_mfma_f64_16x16x4_f64 v[32+0:39+0], v[vgprValuB_X0_I0+4+0+0:vgprValuB_X0_I0+4+0+0+1], v[vgprG2LA+24+0:vgprG2LA+24+0+1], v[32:39]
/*  mfmaIndex:19  */
	;; [unrolled: 3-line block ×6, first 2 shown]
/* localReadsVacancy: latencyLeft 5 */
s_setprio 3                                        // store optimization
v_mfma_f64_16x16x4_f64 v[8+0:15+0], v[vgprValuB_X0_I0+0+0+0:vgprValuB_X0_I0+0+0+0+1], v[vgprG2LA+26+0:vgprG2LA+26+0+1], v[8:15]
/* numPrefetchIter=0 */
/* dataAtIterA=1 numReadsIterA=3 skipReadsIterA=1 readsPerIterA=1 */
/* dataAtIterB=1 numReadsIterB=3 skipReadsIterB=1 readsPerIterB=4 */


/* iter 3 (last unrolled loop) */

s_waitcnt vmcnt(0)                                 // lgkmcnt=-1 vmcnt=0global read wait for DirectToVgpr

/*  grEndMfmaIndex:0, lwStartMfmaIndex:23, lwEndMfmaIndex:23  */
/*  numMfmaForLR:5, barrierMfmaIndex:26, LocalWritePerMfma:0.165 */
/*  mfmaIndex:24  */
s_waitcnt lgkmcnt(0)                               // lgkmcnt=0 vmcnt=-1wait for prior local read local write old=0, new=0 newLW=0 newLR=0
v_mfma_f64_16x16x4_f64 v[0+0:7+0], v[vgprValuB_X1_I0+0+0+0:vgprValuB_X1_I0+0+0+0+1], v[vgprG2LA+28+0:vgprG2LA+28+0+1], v[0:7]
/*  mfmaIndex:25  */
v_mfma_f64_16x16x4_f64 v[16+0:23+0], v[vgprValuB_X1_I0+2+0+0:vgprValuB_X1_I0+2+0+0+1], v[vgprG2LA+28+0:vgprG2LA+28+0+1], v[16:23]
s_setprio 0                                        // store optimization
/*  mfmaIndex:26  */
v_mfma_f64_16x16x4_f64 v[32+0:39+0], v[vgprValuB_X1_I0+4+0+0:vgprValuB_X1_I0+4+0+0+1], v[vgprG2LA+28+0:vgprG2LA+28+0+1], v[32:39]
/*  mfmaIndex:27  */
s_setprio 3                                        // store optimization
v_mfma_f64_16x16x4_f64 v[48+0:55+0], v[vgprValuB_X1_I0+6+0+0:vgprValuB_X1_I0+6+0+0+1], v[vgprG2LA+28+0:vgprG2LA+28+0+1], v[48:55]
/*  mfmaIndex:28  */
v_mfma_f64_16x16x4_f64 v[8+0:15+0], v[vgprValuB_X1_I0+0+0+0:vgprValuB_X1_I0+0+0+0+1], v[vgprG2LA+30+0:vgprG2LA+30+0+1], v[8:15]
/*  mfmaIndex:29  */
	;; [unrolled: 2-line block ×4, first 2 shown]
v_mfma_f64_16x16x4_f64 v[56+0:63+0], v[vgprValuB_X1_I0+6+0+0:vgprValuB_X1_I0+6+0+0+1], v[vgprG2LA+30+0:vgprG2LA+30+0+1], v[56:63]
/* numPrefetchIter=0 */
/* dataAtIterA=2 numReadsIterA=3 skipReadsIterA=0 readsPerIterA=1 */
/* dataAtIterB=2 numReadsIterB=3 skipReadsIterB=0 readsPerIterB=4 */

label_0020: // EvenEndNoLoadLoopOrd 

PrefetchGlobalLastIterEnd_5:


/******************************************/
/* Tail Loop                              */
/******************************************/


/* local write reset offsets a */


	;; [unrolled: 1-line block ×4, first 2 shown]
/* local write reset offsets b */


v_and_b32 v[vgprLocalWriteAddrB], 0xf01fff, v[vgprLocalWriteAddrB] // reset to Red


//numIterL = (((sizeL % LOCAL_DEPTHU) + LOCAL_SPLITU - 1) / LOCAL_SPLITU)
s_and_b32 s[sgprLoopCounterL], 15, s[sgprSizesSum+0] // s[sgprLoopCounterL] = s[sgprSizesSum+0] % 16
s_cmp_eq_u32 s[sgprLoopCounterL], 0x0              // numIterL == 0
s_cbranch_scc1 SkipTailLoopL_8                     // skip to end of tail loop b/c numIter==0
s_mov_b32 s[sgprOrigLoopCounter], 0                // repurpose to count each localRead increment


/* Update M0 for DTLDS */


	;; [unrolled: 1-line block ×3, first 2 shown]
/* global read b */

/* global addressing - max read address = Tensor2dSizeB */
s_mul_hi_u32 s1, s[sgprWorkGroup2], s[sgprStrideBK] // 64b tensorB size in elements
s_mul_i32 s0, s[sgprWorkGroup2], s[sgprStrideBK]   // 64b tensorB size in elements
s_add_u32 s0, s[sgprTensor2dSizeB], s0             // add Tensor2dSizeB
s_addc_u32 s1, s[sgprTensor2dSizeB+1], s1          // add Tensor2dSizeB
s_lshl_b64 s[0:1], s[0:1], 0x3                     // <- tensorB size in bytes
s_add_u32 s0, s18, s0                              // prepend address lower
s_addc_u32 s1, s19, s1                             // prepend address upper
v_mov_b32 v140, s0                                 // sgpr->vgpr
v_mov_b32 v141, s1                                 // sgpr->vgpr
s_mov_b64 s[0:1], 0xFFFFFFFFFFFFFFFF               // to restore all threads active
v_mov_b32 v142, 0x8                                // bpe*numElementsPerLoad
v_mov_b32 v143, 0x0                                // zero
/* g2l=0, load component 0 */
_v_cmpx_lt_u64 vcc, v[vgprGlobalReadAddrB+0:vgprGlobalReadAddrB+0+1], v[140:141] // addr < maxAddr
_global_load_b64 v[vgprG2LB+0+0:vgprG2LB+0+0+1], v[vgprGlobalReadAddrB+0:vgprGlobalReadAddrB+0+1], off, offset:0 // load one global value
s_or_saveexec_b64 vcc, s[0:1]                      // all threads active
_v_add_co_u32 v[vgprGlobalReadAddrB+0+0], vcc, v[vgprGlobalReadAddrB+0+0], v142 // gra += 1 (lower)
_v_addc_co_u32 v[vgprGlobalReadAddrB+0+1], vcc, v[vgprGlobalReadAddrB+0+1], v143, vcc // gra += 1 (upper)
/* g2l=0, load component 1 */
_v_cmpx_lt_u64 vcc, v[vgprGlobalReadAddrB+0:vgprGlobalReadAddrB+0+1], v[140:141] // addr < maxAddr
_global_load_b64 v[vgprG2LB+0+2:vgprG2LB+0+2+1], v[vgprGlobalReadAddrB+0:vgprGlobalReadAddrB+0+1], off, offset:0 // load one global value
s_or_saveexec_b64 vcc, s[0:1]                      // all threads active
_v_add_co_u32 v[vgprGlobalReadAddrB+0+0], vcc, v[vgprGlobalReadAddrB+0+0], v142 // gra += 1 (lower)
_v_addc_co_u32 v[vgprGlobalReadAddrB+0+1], vcc, v[vgprGlobalReadAddrB+0+1], v143, vcc // gra += 1 (upper)
	;; [unrolled: 6-line block ×4, first 2 shown]


/* Update M0 for DTLDS */


	;; [unrolled: 1-line block ×3, first 2 shown]
/* global read a */

/* global addressing - max read address = Tensor2dSizeA */
s_mul_hi_u32 s1, s[sgprWorkGroup2], s[sgprStrideAK] // 64b tensorA size in elements
s_mul_i32 s0, s[sgprWorkGroup2], s[sgprStrideAK]   // 64b tensorA size in elements
s_add_u32 s0, s[sgprTensor2dSizeA], s0             // add Tensor2dSizeA
s_addc_u32 s1, s[sgprTensor2dSizeA+1], s1          // add Tensor2dSizeA
s_lshl_b64 s[0:1], s[0:1], 0x3                     // <- tensorA size in bytes
s_add_u32 s0, s16, s0                              // prepend address lower
s_addc_u32 s1, s17, s1                             // prepend address upper
v_mov_b32 v140, s0                                 // sgpr->vgpr
v_mov_b32 v141, s1                                 // sgpr->vgpr
s_mov_b64 s[0:1], 0xFFFFFFFFFFFFFFFF               // to restore all threads active
v_mov_b32 v142, 0x8                                // bpe*numElementsPerLoad
v_mov_b32 v143, 0x0                                // zero
/* g2l=0, load component 0 */
_v_cmpx_lt_u64 vcc, v[vgprGlobalReadAddrA+0:vgprGlobalReadAddrA+0+1], v[140:141] // addr < maxAddr
_global_load_b64 v[vgprG2LA+0+0:vgprG2LA+0+0+1], v[vgprGlobalReadAddrA+0:vgprGlobalReadAddrA+0+1], off, offset:0 // load one global value
s_or_saveexec_b64 vcc, s[0:1]                      // all threads active
_v_add_co_u32 v[vgprGlobalReadAddrA+0+0], vcc, v[vgprGlobalReadAddrA+0+0], v142 // gra += 1 (lower)
_v_addc_co_u32 v[vgprGlobalReadAddrA+0+1], vcc, v[vgprGlobalReadAddrA+0+1], v143, vcc // gra += 1 (upper)
/* g2l=0, load component 1 */
_v_cmpx_lt_u64 vcc, v[vgprGlobalReadAddrA+0:vgprGlobalReadAddrA+0+1], v[140:141] // addr < maxAddr
_global_load_b64 v[vgprG2LA+0+2:vgprG2LA+0+2+1], v[vgprGlobalReadAddrA+0:vgprGlobalReadAddrA+0+1], off, offset:0 // load one global value
s_or_saveexec_b64 vcc, s[0:1]                      // all threads active
_v_add_co_u32 v[vgprGlobalReadAddrA+0+0], vcc, v[vgprGlobalReadAddrA+0+0], v142 // gra += 1 (lower)
_v_addc_co_u32 v[vgprGlobalReadAddrA+0+1], vcc, v[vgprGlobalReadAddrA+0+1], v143, vcc // gra += 1 (upper)
	;; [unrolled: 6-line block ×8, first 2 shown]

s_waitcnt vmcnt(0)                                 // lgkmcnt=-1 vmcnt=02wait for global read

// Skip force waitcnt0
s_barrier //


/* Done global A/B reads */


	;; [unrolled: 1-line block ×4, first 2 shown]
/* local write a */


	;; [unrolled: 1-line block ×3, first 2 shown]
/* local write b */

_ds_store_b128 v[vgprLocalWriteAddrB], v[vgprG2LB+0:vgprG2LB+0+3] offset:0 // lwoB_0_0_0_0 = (0*LSCB) + (0*LSPB)(*MT1J+PAD) = 0
_ds_store_b128 v[vgprLocalWriteAddrB], v[vgprG2LB+4:vgprG2LB+4+3] offset:4096 // lwoB_0_0_1_0 = (0*LSCB) + (1*LSPB)(*MT1J+PAD) = 4096

s_waitcnt lgkmcnt(0)                               // lgkmcnt=0 vmcnt=-15wait for local write

// Skip force waitcnt0
s_barrier //


/* local read reset offsets a */


	;; [unrolled: 1-line block ×3, first 2 shown]
/* local read reset offsets b */


/* localReadResetOffsets */
/* handled internally */
v_and_b32 v[vgprLocalReadAddrB], 0x1fff, v[vgprLocalReadAddrB] // reset Red,Blk -> Red


/* local read init pointers a */


	;; [unrolled: 1-line block ×3, first 2 shown]
/* local read init pointers b */


/* localReadInitPointers */


/* tail loop: macs */

TailLoopBeginL_6:


/* tail loop unroll iter 0 */


/* local read a */


	;; [unrolled: 1-line block ×3, first 2 shown]
/* local read b */

_ds_load_b64 v[vgprValuB_X0_I0+0:vgprValuB_X0_I0+0+1], v[vgprLocalReadAddrB] offset:0 // L -> Reg lro=0 swapByteOffset=0 ti=16 vIdx=0 rIdx=0 oIdx=0 buffer=0 iui=0
_ds_load_b64 v[vgprValuB_X0_I0+2:vgprValuB_X0_I0+2+1], v[vgprLocalReadAddrB] offset:128 // L -> Reg lro=0 swapByteOffset=0 ti=16 vIdx=1 rIdx=0 oIdx=0 buffer=0 iui=0
	;; [unrolled: 1-line block ×4, first 2 shown]


/* local read inc a */


	;; [unrolled: 1-line block ×3, first 2 shown]
/* local read inc b */

s_mov_b32 s0, 0x800                                // inc
_v_add_co_u32 v[vgprLocalReadAddrB], vcc, s0, v[vgprLocalReadAddrB] // lrB += 2048 (LSU*(MT+PAD)*bpe)

s_waitcnt lgkmcnt(0)                               // lgkmcnt=0 vmcnt=-14wait for local read


	;; [unrolled: 1-line block ×3, first 2 shown]
/* tail loop mfma iter 0: numReadsIterCoalescedA=1, numReadsIterCoalescedB=1 */
v_and_b32 v140, 63, v[vgprSerial]                  // v140 = v[vgprSerial] % 64
v_lshrrev_b32 v140, 4, v140                        // v140 = v140 / 16
                                                   // v140 = v140 * 1 (multiplier is 1, do nothing)
v_cmp_ge_i32 s[42:43], v140, s[sgprLoopCounterL]   // check K index >= Size L
v_cndmask_b32 v[vgprG2LA+0+0+0], v[vgprG2LA+0+0+0], 0x0, s[42:43] // set 0 if K_idx >= sizeL
v_cndmask_b32 v[vgprG2LA+2+0+0], v[vgprG2LA+2+0+0], 0x0, s[42:43] // set 0 if K_idx >= sizeL
v_cndmask_b32 v[vgprValuB_X0_I0+0+0+0+0], v[vgprValuB_X0_I0+0+0+0+0], 0x0, s[42:43] // set 0 if K_idx >= sizeL
v_cndmask_b32 v[vgprValuB_X0_I0+2+0+0+0], v[vgprValuB_X0_I0+2+0+0+0], 0x0, s[42:43] // set 0 if K_idx >= sizeL
	;; [unrolled: 1-line block ×4, first 2 shown]
v_cndmask_b32 v[vgprG2LA+0+0+1], v[vgprG2LA+0+0+1], 0x0, s[42:43] // set 0 if K_idx >= sizeL
v_cndmask_b32 v[vgprG2LA+2+0+1], v[vgprG2LA+2+0+1], 0x0, s[42:43] // set 0 if K_idx >= sizeL
v_cndmask_b32 v[vgprValuB_X0_I0+0+0+0+1], v[vgprValuB_X0_I0+0+0+0+1], 0x0, s[42:43] // set 0 if K_idx >= sizeL
v_cndmask_b32 v[vgprValuB_X0_I0+2+0+0+1], v[vgprValuB_X0_I0+2+0+0+1], 0x0, s[42:43] // set 0 if K_idx >= sizeL
	;; [unrolled: 1-line block ×4, first 2 shown]
s_nop 1
v_mfma_f64_16x16x4_f64 v[0+0:7+0], v[vgprValuB_X0_I0+0+0+0:vgprValuB_X0_I0+0+0+0+1], v[vgprG2LA+0+0:vgprG2LA+0+0+1], v[0:7]
v_mfma_f64_16x16x4_f64 v[16+0:23+0], v[vgprValuB_X0_I0+2+0+0:vgprValuB_X0_I0+2+0+0+1], v[vgprG2LA+0+0:vgprG2LA+0+0+1], v[16:23]
	;; [unrolled: 1-line block ×8, first 2 shown]


/* closeLoop loopL finalLoop=0 tailLoop=1 */
s_sub_i32 s[sgprLoopCounterL], s[sgprLoopCounterL], 0x4 // dec counterL (tailLoop)
s_add_u32 s[sgprOrigLoopCounter], s[sgprOrigLoopCounter], 0x4 // inc counterL
s_cmp_le_i32 s[sgprLoopCounterL], 0x0              // counterL<=0
s_cbranch_scc1 TailLoopEndL_7                      // exit LoopL


/* tail loop unroll iter 1 */


/* local read a */


	;; [unrolled: 1-line block ×3, first 2 shown]
/* local read b */

_ds_load_b64 v[vgprValuB_X1_I0+0:vgprValuB_X1_I0+0+1], v[vgprLocalReadAddrB] offset:0 // L -> Reg lro=0 swapByteOffset=0 ti=16 vIdx=0 rIdx=0 oIdx=0 buffer=1 iui=0
_ds_load_b64 v[vgprValuB_X1_I0+2:vgprValuB_X1_I0+2+1], v[vgprLocalReadAddrB] offset:128 // L -> Reg lro=0 swapByteOffset=0 ti=16 vIdx=1 rIdx=0 oIdx=0 buffer=1 iui=0
	;; [unrolled: 1-line block ×4, first 2 shown]


/* local read inc a */


	;; [unrolled: 1-line block ×3, first 2 shown]
/* local read inc b */

s_mov_b32 s0, 0x800                                // inc
_v_add_co_u32 v[vgprLocalReadAddrB], vcc, s0, v[vgprLocalReadAddrB] // lrB += 2048 (LSU*(MT+PAD)*bpe)

s_waitcnt lgkmcnt(0)                               // lgkmcnt=0 vmcnt=-14wait for local read


	;; [unrolled: 1-line block ×3, first 2 shown]
/* tail loop mfma iter 1: numReadsIterCoalescedA=1, numReadsIterCoalescedB=1 */
v_and_b32 v140, 63, v[vgprSerial]                  // v140 = v[vgprSerial] % 64
v_lshrrev_b32 v140, 4, v140                        // v140 = v140 / 16
                                                   // v140 = v140 * 1 (multiplier is 1, do nothing)
v_cmp_ge_i32 s[42:43], v140, s[sgprLoopCounterL]   // check K index >= Size L
v_cndmask_b32 v[vgprG2LA+4+0+0], v[vgprG2LA+4+0+0], 0x0, s[42:43] // set 0 if K_idx >= sizeL
v_cndmask_b32 v[vgprG2LA+6+0+0], v[vgprG2LA+6+0+0], 0x0, s[42:43] // set 0 if K_idx >= sizeL
v_cndmask_b32 v[vgprValuB_X1_I0+0+0+0+0], v[vgprValuB_X1_I0+0+0+0+0], 0x0, s[42:43] // set 0 if K_idx >= sizeL
v_cndmask_b32 v[vgprValuB_X1_I0+2+0+0+0], v[vgprValuB_X1_I0+2+0+0+0], 0x0, s[42:43] // set 0 if K_idx >= sizeL
	;; [unrolled: 1-line block ×4, first 2 shown]
v_cndmask_b32 v[vgprG2LA+4+0+1], v[vgprG2LA+4+0+1], 0x0, s[42:43] // set 0 if K_idx >= sizeL
v_cndmask_b32 v[vgprG2LA+6+0+1], v[vgprG2LA+6+0+1], 0x0, s[42:43] // set 0 if K_idx >= sizeL
v_cndmask_b32 v[vgprValuB_X1_I0+0+0+0+1], v[vgprValuB_X1_I0+0+0+0+1], 0x0, s[42:43] // set 0 if K_idx >= sizeL
v_cndmask_b32 v[vgprValuB_X1_I0+2+0+0+1], v[vgprValuB_X1_I0+2+0+0+1], 0x0, s[42:43] // set 0 if K_idx >= sizeL
	;; [unrolled: 1-line block ×4, first 2 shown]
s_nop 1
v_mfma_f64_16x16x4_f64 v[0+0:7+0], v[vgprValuB_X1_I0+0+0+0:vgprValuB_X1_I0+0+0+0+1], v[vgprG2LA+4+0:vgprG2LA+4+0+1], v[0:7]
v_mfma_f64_16x16x4_f64 v[16+0:23+0], v[vgprValuB_X1_I0+2+0+0:vgprValuB_X1_I0+2+0+0+1], v[vgprG2LA+4+0:vgprG2LA+4+0+1], v[16:23]
	;; [unrolled: 1-line block ×8, first 2 shown]


/* closeLoop loopL finalLoop=0 tailLoop=1 */
s_sub_i32 s[sgprLoopCounterL], s[sgprLoopCounterL], 0x4 // dec counterL (tailLoop)
s_add_u32 s[sgprOrigLoopCounter], s[sgprOrigLoopCounter], 0x4 // inc counterL
s_cmp_le_i32 s[sgprLoopCounterL], 0x0              // counterL<=0
s_cbranch_scc1 TailLoopEndL_7                      // exit LoopL


/* tail loop unroll iter 2 */


/* local read a */


	;; [unrolled: 1-line block ×3, first 2 shown]
/* local read b */

_ds_load_b64 v[vgprValuB_X0_I0+0:vgprValuB_X0_I0+0+1], v[vgprLocalReadAddrB] offset:0 // L -> Reg lro=0 swapByteOffset=0 ti=16 vIdx=0 rIdx=0 oIdx=0 buffer=0 iui=0
_ds_load_b64 v[vgprValuB_X0_I0+2:vgprValuB_X0_I0+2+1], v[vgprLocalReadAddrB] offset:128 // L -> Reg lro=0 swapByteOffset=0 ti=16 vIdx=1 rIdx=0 oIdx=0 buffer=0 iui=0
	;; [unrolled: 1-line block ×4, first 2 shown]


/* local read inc a */



/* local read inc b */

s_mov_b32 s0, 0x800                                // inc
_v_add_co_u32 v[vgprLocalReadAddrB], vcc, s0, v[vgprLocalReadAddrB] // lrB += 2048 (LSU*(MT+PAD)*bpe)

s_waitcnt lgkmcnt(0)                               // lgkmcnt=0 vmcnt=-14wait for local read



/* tail loop mfma iter 2: numReadsIterCoalescedA=1, numReadsIterCoalescedB=1 */
v_and_b32 v140, 63, v[vgprSerial]                  // v140 = v[vgprSerial] % 64
v_lshrrev_b32 v140, 4, v140                        // v140 = v140 / 16
                                                   // v140 = v140 * 1 (multiplier is 1, do nothing)
v_cmp_ge_i32 s[42:43], v140, s[sgprLoopCounterL]   // check K index >= Size L
v_cndmask_b32 v[vgprG2LA+8+0+0], v[vgprG2LA+8+0+0], 0x0, s[42:43] // set 0 if K_idx >= sizeL
v_cndmask_b32 v[vgprG2LA+10+0+0], v[vgprG2LA+10+0+0], 0x0, s[42:43] // set 0 if K_idx >= sizeL
v_cndmask_b32 v[vgprValuB_X0_I0+0+0+0+0], v[vgprValuB_X0_I0+0+0+0+0], 0x0, s[42:43] // set 0 if K_idx >= sizeL
v_cndmask_b32 v[vgprValuB_X0_I0+2+0+0+0], v[vgprValuB_X0_I0+2+0+0+0], 0x0, s[42:43] // set 0 if K_idx >= sizeL
v_cndmask_b32 v[vgprValuB_X0_I0+4+0+0+0], v[vgprValuB_X0_I0+4+0+0+0], 0x0, s[42:43] // set 0 if K_idx >= sizeL
v_cndmask_b32 v[vgprValuB_X0_I0+6+0+0+0], v[vgprValuB_X0_I0+6+0+0+0], 0x0, s[42:43] // set 0 if K_idx >= sizeL
v_cndmask_b32 v[vgprG2LA+8+0+1], v[vgprG2LA+8+0+1], 0x0, s[42:43] // set 0 if K_idx >= sizeL
v_cndmask_b32 v[vgprG2LA+10+0+1], v[vgprG2LA+10+0+1], 0x0, s[42:43] // set 0 if K_idx >= sizeL
v_cndmask_b32 v[vgprValuB_X0_I0+0+0+0+1], v[vgprValuB_X0_I0+0+0+0+1], 0x0, s[42:43] // set 0 if K_idx >= sizeL
v_cndmask_b32 v[vgprValuB_X0_I0+2+0+0+1], v[vgprValuB_X0_I0+2+0+0+1], 0x0, s[42:43] // set 0 if K_idx >= sizeL
	;; [unrolled: 1-line block ×4, first 2 shown]
s_nop 1
v_mfma_f64_16x16x4_f64 v[0+0:7+0], v[vgprValuB_X0_I0+0+0+0:vgprValuB_X0_I0+0+0+0+1], v[vgprG2LA+8+0:vgprG2LA+8+0+1], v[0:7]
v_mfma_f64_16x16x4_f64 v[16+0:23+0], v[vgprValuB_X0_I0+2+0+0:vgprValuB_X0_I0+2+0+0+1], v[vgprG2LA+8+0:vgprG2LA+8+0+1], v[16:23]
	;; [unrolled: 1-line block ×8, first 2 shown]


/* closeLoop loopL finalLoop=0 tailLoop=1 */
s_sub_i32 s[sgprLoopCounterL], s[sgprLoopCounterL], 0x4 // dec counterL (tailLoop)
s_add_u32 s[sgprOrigLoopCounter], s[sgprOrigLoopCounter], 0x4 // inc counterL
s_cmp_le_i32 s[sgprLoopCounterL], 0x0              // counterL<=0
s_cbranch_scc1 TailLoopEndL_7                      // exit LoopL


/* tail loop unroll iter 3 */


/* local read a */


	;; [unrolled: 1-line block ×3, first 2 shown]
/* local read b */

_ds_load_b64 v[vgprValuB_X1_I0+0:vgprValuB_X1_I0+0+1], v[vgprLocalReadAddrB] offset:0 // L -> Reg lro=0 swapByteOffset=0 ti=16 vIdx=0 rIdx=0 oIdx=0 buffer=1 iui=0
_ds_load_b64 v[vgprValuB_X1_I0+2:vgprValuB_X1_I0+2+1], v[vgprLocalReadAddrB] offset:128 // L -> Reg lro=0 swapByteOffset=0 ti=16 vIdx=1 rIdx=0 oIdx=0 buffer=1 iui=0
	;; [unrolled: 1-line block ×4, first 2 shown]


/* local read inc a */



/* local read inc b */

s_mov_b32 s0, 0x800                                // inc
_v_add_co_u32 v[vgprLocalReadAddrB], vcc, s0, v[vgprLocalReadAddrB] // lrB += 2048 (LSU*(MT+PAD)*bpe)

s_waitcnt lgkmcnt(0)                               // lgkmcnt=0 vmcnt=-14wait for local read


	;; [unrolled: 1-line block ×3, first 2 shown]
/* tail loop mfma iter 3: numReadsIterCoalescedA=1, numReadsIterCoalescedB=1 */
v_and_b32 v140, 63, v[vgprSerial]                  // v140 = v[vgprSerial] % 64
v_lshrrev_b32 v140, 4, v140                        // v140 = v140 / 16
                                                   // v140 = v140 * 1 (multiplier is 1, do nothing)
v_cmp_ge_i32 s[42:43], v140, s[sgprLoopCounterL]   // check K index >= Size L
v_cndmask_b32 v[vgprG2LA+12+0+0], v[vgprG2LA+12+0+0], 0x0, s[42:43] // set 0 if K_idx >= sizeL
v_cndmask_b32 v[vgprG2LA+14+0+0], v[vgprG2LA+14+0+0], 0x0, s[42:43] // set 0 if K_idx >= sizeL
v_cndmask_b32 v[vgprValuB_X1_I0+0+0+0+0], v[vgprValuB_X1_I0+0+0+0+0], 0x0, s[42:43] // set 0 if K_idx >= sizeL
v_cndmask_b32 v[vgprValuB_X1_I0+2+0+0+0], v[vgprValuB_X1_I0+2+0+0+0], 0x0, s[42:43] // set 0 if K_idx >= sizeL
	;; [unrolled: 1-line block ×4, first 2 shown]
v_cndmask_b32 v[vgprG2LA+12+0+1], v[vgprG2LA+12+0+1], 0x0, s[42:43] // set 0 if K_idx >= sizeL
v_cndmask_b32 v[vgprG2LA+14+0+1], v[vgprG2LA+14+0+1], 0x0, s[42:43] // set 0 if K_idx >= sizeL
v_cndmask_b32 v[vgprValuB_X1_I0+0+0+0+1], v[vgprValuB_X1_I0+0+0+0+1], 0x0, s[42:43] // set 0 if K_idx >= sizeL
v_cndmask_b32 v[vgprValuB_X1_I0+2+0+0+1], v[vgprValuB_X1_I0+2+0+0+1], 0x0, s[42:43] // set 0 if K_idx >= sizeL
	;; [unrolled: 1-line block ×4, first 2 shown]
s_nop 1
v_mfma_f64_16x16x4_f64 v[0+0:7+0], v[vgprValuB_X1_I0+0+0+0:vgprValuB_X1_I0+0+0+0+1], v[vgprG2LA+12+0:vgprG2LA+12+0+1], v[0:7]
v_mfma_f64_16x16x4_f64 v[16+0:23+0], v[vgprValuB_X1_I0+2+0+0:vgprValuB_X1_I0+2+0+0+1], v[vgprG2LA+12+0:vgprG2LA+12+0+1], v[16:23]
	;; [unrolled: 1-line block ×8, first 2 shown]


/* closeLoop loopL finalLoop=1 tailLoop=1 */
s_sub_i32 s[sgprLoopCounterL], s[sgprLoopCounterL], 0x4 // dec counterL (tailLoop)
s_add_u32 s[sgprOrigLoopCounter], s[sgprOrigLoopCounter], 0x4 // inc counterL
s_cmp_le_i32 s[sgprLoopCounterL], 0x0              // counterL<=0
s_cbranch_scc0 TailLoopBeginL_6                    // restart LoopL
TailLoopEndL_7:

SkipTailLoopL_8:

Summation_End_23:
s_setprio 0                                        // optimization store
/* endSummation: add vgpr [64...138) to pool */
.set NumFullBlocks, UNDEF
.set WgmRemainder1, UNDEF
.set MagicNumberWgmRemainder1, UNDEF

/* Mapping of Acc register -> C Vgpr register */

/* Multiply MI out register with Alpha -> C Vgpr register */


/* shift vector components d0 */

v_mov_b32 v65, s[sgprWorkGroup0]                   // 
v_mul_i32_i24 v65, -0x80, v65                      // wg*MT
_v_add_co_u32 v65, vcc, s[sgprSizesFree+0], v65    // wgMT = Size - wg*MT
v_mov_b32 v66, 0x80                                // MT
v_min_u32 v65, v66, v65                            // wgMT = (wgMT < MT) ? wgMT : MT
v_lshrrev_b32 v64, 6, v[vgprSerial]                // v64 = v[vgprSerial] / 64
v_and_b32 v67, 3, v64                              // v67 = v64 % 4
v_lshrrev_b32 v64, 5, v65                          // v64 = v65 / 32
v_and_b32 v68, 3, v64                              // v68 = v64 % 4
v_cmp_eq_u32 s[0:1], v68, v67                      // wave_id == block_belong_to_wave?
v_cndmask_b32 v65, v66, v65, s[0:1]                // wgMT = (wgMT < MT) ? wgMT : MT

/* mbReg: which mb block need to shift, mb(matrixInstCoal(16) * VectorWidth(2)) */
v_lshrrev_b32 v66, 5, v65                          // v66 = v65 / 32
v_lshlrev_b32 v68, 0x0, v67                        // v68 = v67 * 1
_v_sub_u32 v66, v66, v68                           // 

/* gbReg: glvw block id */
v_lshrrev_b32 v68, 1, v65                          // v68 = v65 / 2

/* tgbReg: glvw block id */
v_lshrrev_b32 v64, 0, v[vgprSerial]                // v64 = v[vgprSerial] / 1
v_and_b32 v69, 15, v64                             // v69 = v64 % 16
v_lshlrev_b32 v69, 0x1, v69                        // v69 = v69 * 2
v_lshrrev_b32 v69, 1, v69                          // v69 = v69 / 2
v_lshlrev_b32 v67, 0x4, v67                        // v67 = v67 * 16
_v_add_co_u32 v69, vcc, v67, v69                   // tgbReg = (tid_coal * continOut) / GLVW
_v_sub_u32 v68, v68, v69                           // 

/* vwReg: glvw in which vw block? */
v_and_b32 v67, 1, v65                              // permute register between threads
v_lshrrev_b32 v67, 1, v67                          // permute register between threads

/* rReg : reminder of M_size % GlobalLoadVectorWidth */
v_and_b32 v69, 1, v65                              // v69 = v65 % 2
v_cmp_eq_u32 vcc, v69, 0x1                         // wgMT%VW == 1
s_cbranch_vccnz label_0024                         // branch to shift d0 r=1
s_branch label_0027                                // no shifting

/******************************************/
/* shift d0 r=1                           */
/******************************************/
label_0024:
v_cmp_eq_u32 vcc, v66, 0x0                         // 
s_cbranch_vccnz label_0025                         // branch to shift d0 r1 mb0

/******************************************/
/* shift d0 r=1 mb=0                      */
/******************************************/
label_0025: // r1 mb0 
v_cmp_eq_u32 vcc, v67, 0x0                         // 
s_cbranch_vccnz label_0026                         // branch to shift d0 r1 mb0 vw0

/******************************************/
/* shift d0 r=1 mb=0 vw0                  */
/******************************************/
label_0026: // r1 mb0 vw0 
s_mov_b32 s0, 0                                    // 
_v_cmpx_eq_u32 s[0:1], v68, s0                     // is thread in edge glvw region
v_and_b32 v64, 63, v[vgprSerial]                   // permute register between threads
v_lshlrev_b32 v64, 2, v64                          // permute register between threads
v_mov_b32 v0, v8                                   // glvw 1 mb 0 tt1 0 r 0
v_mov_b32 v1, v9                                   // glvw 1 mb 0 tt1 0 r 1
v_mov_b32 v2, v10                                  // glvw 1 mb 0 tt1 1 r 0
v_mov_b32 v3, v11                                  // glvw 1 mb 0 tt1 1 r 1
	;; [unrolled: 1-line block ×6, first 2 shown]
v_mov_b32 v16, v24                                 // glvw 1 mb 0 tt1 4 r 0
v_mov_b32 v17, v25                                 // glvw 1 mb 0 tt1 4 r 1
v_mov_b32 v18, v26                                 // glvw 1 mb 0 tt1 5 r 0
v_mov_b32 v19, v27                                 // glvw 1 mb 0 tt1 5 r 1
v_mov_b32 v20, v28                                 // glvw 1 mb 0 tt1 6 r 0
v_mov_b32 v21, v29                                 // glvw 1 mb 0 tt1 6 r 1
v_mov_b32 v22, v30                                 // glvw 1 mb 0 tt1 7 r 0
v_mov_b32 v23, v31                                 // glvw 1 mb 0 tt1 7 r 1
v_mov_b32 v32, v40                                 // glvw 1 mb 0 tt1 8 r 0
v_mov_b32 v33, v41                                 // glvw 1 mb 0 tt1 8 r 1
v_mov_b32 v34, v42                                 // glvw 1 mb 0 tt1 9 r 0
v_mov_b32 v35, v43                                 // glvw 1 mb 0 tt1 9 r 1
v_mov_b32 v36, v44                                 // glvw 1 mb 0 tt1 10 r 0
v_mov_b32 v37, v45                                 // glvw 1 mb 0 tt1 10 r 1
v_mov_b32 v38, v46                                 // glvw 1 mb 0 tt1 11 r 0
v_mov_b32 v39, v47                                 // glvw 1 mb 0 tt1 11 r 1
v_mov_b32 v48, v56                                 // glvw 1 mb 0 tt1 12 r 0
v_mov_b32 v49, v57                                 // glvw 1 mb 0 tt1 12 r 1
v_mov_b32 v50, v58                                 // glvw 1 mb 0 tt1 13 r 0
v_mov_b32 v51, v59                                 // glvw 1 mb 0 tt1 13 r 1
v_mov_b32 v52, v60                                 // glvw 1 mb 0 tt1 14 r 0
v_mov_b32 v53, v61                                 // glvw 1 mb 0 tt1 14 r 1
v_mov_b32 v54, v62                                 // glvw 1 mb 0 tt1 15 r 0
v_mov_b32 v55, v63                                 // glvw 1 mb 0 tt1 15 r 1
s_mov_b64 s[0:1], 0xFFFFFFFFFFFFFFFF               // to restore all threads active
s_or_saveexec_b64 vcc, s[0:1]                      // all threads active
s_branch label_0027                                // done shifting

label_0027: // end shift0


/* shift vector components d1 */

v_mov_b32 v65, s[sgprWorkGroup1]                   // 
v_mul_i32_i24 v65, -0x40, v65                      // wg*MT
_v_add_co_u32 v65, vcc, s[sgprSizesFree+1], v65    // wgMT = Size - wg*MT
v_mov_b32 v66, 0x40                                // MT
v_min_u32 v65, v66, v65                            // wgMT = (wgMT < MT) ? wgMT : MT
v_lshrrev_b32 v64, 8, v[vgprSerial]                // v64 = v[vgprSerial] / 256
v_and_b32 v67, 0, v64                              // v67 = v64 % 1
v_lshrrev_b32 v64, 4, v65                          // v64 = v65 / 16
v_and_b32 v68, 0, v64                              // v68 = v64 % 1
v_cmp_eq_u32 s[0:1], v68, v67                      // wave_id == block_belong_to_wave?
v_cndmask_b32 v65, v66, v65, s[0:1]                // wgMT = (wgMT < MT) ? wgMT : MT

/* mbReg: which mb block need to shift, mb(matrixInstCoal(16) * VectorWidth(1)) */
v_lshrrev_b32 v66, 2, v65                          // v66 = v65 / 4
v_lshlrev_b32 v68, 0x2, v67                        // v68 = v67 * 4
_v_sub_u32 v66, v66, v68                           // 

/* gbReg: glvw block id */
v_lshrrev_b32 v68, 1, v65                          // v68 = v65 / 2

/* tgbReg: glvw block id */
v_lshrrev_b32 v64, 4, v[vgprSerial]                // v64 = v[vgprSerial] / 16
v_and_b32 v69, 3, v64                              // v69 = v64 % 4
                                                   // v69 = v69 * 1 (multiplier is 1, do nothing)
v_lshrrev_b32 v69, 1, v69                          // v69 = v69 / 2
v_lshlrev_b32 v67, 0x3, v67                        // v67 = v67 * 8
_v_add_co_u32 v69, vcc, v67, v69                   // tgbReg = (tid_coal * continOut) / GLVW
_v_sub_u32 v68, v68, v69                           // 

/* vwReg: glvw in which vw block? */
v_and_b32 v67, 0, v65                              // permute register between threads
v_lshrrev_b32 v67, 1, v67                          // permute register between threads

/* rReg : reminder of M_size % GlobalLoadVectorWidth */
v_and_b32 v69, 1, v65                              // v69 = v65 % 2
v_cmp_eq_u32 vcc, v69, 0x1                         // wgMT%VW == 1
s_cbranch_vccnz label_0030                         // branch to shift d1 r=1
s_branch label_0063                                // no shifting

/******************************************/
/* shift d1 r=1                           */
/******************************************/
label_0030:
v_cmp_eq_u32 vcc, v66, 0x0                         // 
s_cbranch_vccnz label_0031                         // branch to shift d1 r1 mb0
v_cmp_eq_u32 vcc, v66, 0x1                         // 
s_cbranch_vccnz label_0033                         // branch to shift d1 r1 mb1
v_cmp_eq_u32 vcc, v66, 0x2                         // 
s_cbranch_vccnz label_0035                         // branch to shift d1 r1 mb2
v_cmp_eq_u32 vcc, v66, 0x3                         // 
s_cbranch_vccnz label_0037                         // branch to shift d1 r1 mb3
v_cmp_eq_u32 vcc, v66, 0x4                         // 
s_cbranch_vccnz label_0039                         // branch to shift d1 r1 mb4
v_cmp_eq_u32 vcc, v66, 0x5                         // 
s_cbranch_vccnz label_0041                         // branch to shift d1 r1 mb5
v_cmp_eq_u32 vcc, v66, 0x6                         // 
s_cbranch_vccnz label_0043                         // branch to shift d1 r1 mb6
v_cmp_eq_u32 vcc, v66, 0x7                         // 
s_cbranch_vccnz label_0045                         // branch to shift d1 r1 mb7
v_cmp_eq_u32 vcc, v66, 0x8                         // 
s_cbranch_vccnz label_0047                         // branch to shift d1 r1 mb8
v_cmp_eq_u32 vcc, v66, 0x9                         // 
s_cbranch_vccnz label_0049                         // branch to shift d1 r1 mb9
v_cmp_eq_u32 vcc, v66, 0xa                         // 
s_cbranch_vccnz label_0051                         // branch to shift d1 r1 mb10
v_cmp_eq_u32 vcc, v66, 0xb                         // 
s_cbranch_vccnz label_0053                         // branch to shift d1 r1 mb11
v_cmp_eq_u32 vcc, v66, 0xc                         // 
s_cbranch_vccnz label_0055                         // branch to shift d1 r1 mb12
v_cmp_eq_u32 vcc, v66, 0xd                         // 
s_cbranch_vccnz label_0057                         // branch to shift d1 r1 mb13
v_cmp_eq_u32 vcc, v66, 0xe                         // 
s_cbranch_vccnz label_0059                         // branch to shift d1 r1 mb14
v_cmp_eq_u32 vcc, v66, 0xf                         // 
s_cbranch_vccnz label_0061                         // branch to shift d1 r1 mb15

/******************************************/
/* shift d1 r=1 mb=0                      */
/******************************************/
label_0031: // r1 mb0 
v_cmp_eq_u32 vcc, v67, 0x0                         // 
s_cbranch_vccnz label_0032                         // branch to shift d1 r1 mb0 vw0

/******************************************/
/* shift d1 r=1 mb=1                      */
/******************************************/
label_0033: // r1 mb1 
v_cmp_eq_u32 vcc, v67, 0x0                         // 
s_cbranch_vccnz label_0034                         // branch to shift d1 r1 mb1 vw0

/******************************************/
/* shift d1 r=1 mb=2                      */
/******************************************/
label_0035: // r1 mb2 
v_cmp_eq_u32 vcc, v67, 0x0                         // 
s_cbranch_vccnz label_0036                         // branch to shift d1 r1 mb2 vw0

/******************************************/
/* shift d1 r=1 mb=3                      */
/******************************************/
label_0037: // r1 mb3 
v_cmp_eq_u32 vcc, v67, 0x0                         // 
s_cbranch_vccnz label_0038                         // branch to shift d1 r1 mb3 vw0

/******************************************/
/* shift d1 r=1 mb=4                      */
/******************************************/
label_0039: // r1 mb4 
v_cmp_eq_u32 vcc, v67, 0x0                         // 
s_cbranch_vccnz label_0040                         // branch to shift d1 r1 mb4 vw0

/******************************************/
/* shift d1 r=1 mb=5                      */
/******************************************/
label_0041: // r1 mb5 
v_cmp_eq_u32 vcc, v67, 0x0                         // 
s_cbranch_vccnz label_0042                         // branch to shift d1 r1 mb5 vw0

/******************************************/
/* shift d1 r=1 mb=6                      */
/******************************************/
label_0043: // r1 mb6 
v_cmp_eq_u32 vcc, v67, 0x0                         // 
s_cbranch_vccnz label_0044                         // branch to shift d1 r1 mb6 vw0

/******************************************/
/* shift d1 r=1 mb=7                      */
/******************************************/
label_0045: // r1 mb7 
v_cmp_eq_u32 vcc, v67, 0x0                         // 
s_cbranch_vccnz label_0046                         // branch to shift d1 r1 mb7 vw0

/******************************************/
/* shift d1 r=1 mb=8                      */
/******************************************/
label_0047: // r1 mb8 
v_cmp_eq_u32 vcc, v67, 0x0                         // 
s_cbranch_vccnz label_0048                         // branch to shift d1 r1 mb8 vw0

/******************************************/
/* shift d1 r=1 mb=9                      */
/******************************************/
label_0049: // r1 mb9 
v_cmp_eq_u32 vcc, v67, 0x0                         // 
s_cbranch_vccnz label_0050                         // branch to shift d1 r1 mb9 vw0

/******************************************/
/* shift d1 r=1 mb=10                     */
/******************************************/
label_0051: // r1 mb10 
v_cmp_eq_u32 vcc, v67, 0x0                         // 
s_cbranch_vccnz label_0052                         // branch to shift d1 r1 mb10 vw0

/******************************************/
/* shift d1 r=1 mb=11                     */
/******************************************/
label_0053: // r1 mb11 
v_cmp_eq_u32 vcc, v67, 0x0                         // 
s_cbranch_vccnz label_0054                         // branch to shift d1 r1 mb11 vw0

/******************************************/
/* shift d1 r=1 mb=12                     */
/******************************************/
label_0055: // r1 mb12 
v_cmp_eq_u32 vcc, v67, 0x0                         // 
s_cbranch_vccnz label_0056                         // branch to shift d1 r1 mb12 vw0

/******************************************/
/* shift d1 r=1 mb=13                     */
/******************************************/
label_0057: // r1 mb13 
v_cmp_eq_u32 vcc, v67, 0x0                         // 
s_cbranch_vccnz label_0058                         // branch to shift d1 r1 mb13 vw0

/******************************************/
/* shift d1 r=1 mb=14                     */
/******************************************/
label_0059: // r1 mb14 
v_cmp_eq_u32 vcc, v67, 0x0                         // 
s_cbranch_vccnz label_0060                         // branch to shift d1 r1 mb14 vw0

/******************************************/
/* shift d1 r=1 mb=15                     */
/******************************************/
label_0061: // r1 mb15 
v_cmp_eq_u32 vcc, v67, 0x0                         // 
s_cbranch_vccnz label_0062                         // branch to shift d1 r1 mb15 vw0

/******************************************/
/* shift d1 r=1 mb=0 vw0                  */
/******************************************/
label_0032: // r1 mb0 vw0 
s_mov_b32 s0, 0                                    // 
_v_cmpx_eq_u32 s[0:1], v68, s0                     // is thread in edge glvw region
v_and_b32 v64, 63, v[vgprSerial]                   // permute register between threads
v_lshlrev_b32 v64, 2, v64                          // permute register between threads
ds_bpermute_b32 v0, v64, v0, offset:64             // permute edge values
s_waitcnt 0                                        // wait for swizzle operation
ds_bpermute_b32 v1, v64, v1, offset:64             // permute edge values
s_waitcnt 0                                        // wait for swizzle operation
	;; [unrolled: 2-line block ×4, first 2 shown]
s_mov_b64 s[0:1], 0xFFFFFFFFFFFFFFFF               // to restore all threads active
s_or_saveexec_b64 vcc, s[0:1]                      // all threads active
s_branch label_0063                                // done shifting


/******************************************/
/* shift d1 r=1 mb=1 vw0                  */
/******************************************/
label_0034: // r1 mb1 vw0 
s_mov_b32 s0, 2                                    // 
_v_cmpx_eq_u32 s[0:1], v68, s0                     // is thread in edge glvw region
v_and_b32 v64, 63, v[vgprSerial]                   // permute register between threads
v_lshlrev_b32 v64, 2, v64                          // permute register between threads
ds_bpermute_b32 v2, v64, v2, offset:64             // permute edge values
s_waitcnt 0                                        // wait for swizzle operation
ds_bpermute_b32 v3, v64, v3, offset:64             // permute edge values
s_waitcnt 0                                        // wait for swizzle operation
ds_bpermute_b32 v10, v64, v10, offset:64           // permute edge values
s_waitcnt 0                                        // wait for swizzle operation
ds_bpermute_b32 v11, v64, v11, offset:64           // permute edge values
s_waitcnt 0                                        // wait for swizzle operation
s_mov_b64 s[0:1], 0xFFFFFFFFFFFFFFFF               // to restore all threads active
s_or_saveexec_b64 vcc, s[0:1]                      // all threads active
s_branch label_0063                                // done shifting


/******************************************/
/* shift d1 r=1 mb=2 vw0                  */
/******************************************/
label_0036: // r1 mb2 vw0 
s_mov_b32 s0, 4                                    // 
_v_cmpx_eq_u32 s[0:1], v68, s0                     // is thread in edge glvw region
v_and_b32 v64, 63, v[vgprSerial]                   // permute register between threads
v_lshlrev_b32 v64, 2, v64                          // permute register between threads
ds_bpermute_b32 v4, v64, v4, offset:64             // permute edge values
s_waitcnt 0                                        // wait for swizzle operation
ds_bpermute_b32 v5, v64, v5, offset:64             // permute edge values
s_waitcnt 0                                        // wait for swizzle operation
ds_bpermute_b32 v12, v64, v12, offset:64           // permute edge values
s_waitcnt 0                                        // wait for swizzle operation
ds_bpermute_b32 v13, v64, v13, offset:64           // permute edge values
s_waitcnt 0                                        // wait for swizzle operation
s_mov_b64 s[0:1], 0xFFFFFFFFFFFFFFFF               // to restore all threads active
s_or_saveexec_b64 vcc, s[0:1]                      // all threads active
s_branch label_0063                                // done shifting


/******************************************/
/* shift d1 r=1 mb=3 vw0                  */
/******************************************/
label_0038: // r1 mb3 vw0 
s_mov_b32 s0, 6                                    // 
_v_cmpx_eq_u32 s[0:1], v68, s0                     // is thread in edge glvw region
v_and_b32 v64, 63, v[vgprSerial]                   // permute register between threads
v_lshlrev_b32 v64, 2, v64                          // permute register between threads
ds_bpermute_b32 v6, v64, v6, offset:64             // permute edge values
s_waitcnt 0                                        // wait for swizzle operation
ds_bpermute_b32 v7, v64, v7, offset:64             // permute edge values
s_waitcnt 0                                        // wait for swizzle operation
ds_bpermute_b32 v14, v64, v14, offset:64           // permute edge values
s_waitcnt 0                                        // wait for swizzle operation
ds_bpermute_b32 v15, v64, v15, offset:64           // permute edge values
s_waitcnt 0                                        // wait for swizzle operation
s_mov_b64 s[0:1], 0xFFFFFFFFFFFFFFFF               // to restore all threads active
s_or_saveexec_b64 vcc, s[0:1]                      // all threads active
s_branch label_0063                                // done shifting


/******************************************/
/* shift d1 r=1 mb=4 vw0                  */
/******************************************/
label_0040: // r1 mb4 vw0 
s_mov_b32 s0, 8                                    // 
_v_cmpx_eq_u32 s[0:1], v68, s0                     // is thread in edge glvw region
v_and_b32 v64, 63, v[vgprSerial]                   // permute register between threads
v_lshlrev_b32 v64, 2, v64                          // permute register between threads
ds_bpermute_b32 v16, v64, v16, offset:64           // permute edge values
s_waitcnt 0                                        // wait for swizzle operation
ds_bpermute_b32 v17, v64, v17, offset:64           // permute edge values
s_waitcnt 0                                        // wait for swizzle operation
	;; [unrolled: 2-line block ×4, first 2 shown]
s_mov_b64 s[0:1], 0xFFFFFFFFFFFFFFFF               // to restore all threads active
s_or_saveexec_b64 vcc, s[0:1]                      // all threads active
s_branch label_0063                                // done shifting


/******************************************/
/* shift d1 r=1 mb=5 vw0                  */
/******************************************/
label_0042: // r1 mb5 vw0 
s_mov_b32 s0, 10                                   // 
_v_cmpx_eq_u32 s[0:1], v68, s0                     // is thread in edge glvw region
v_and_b32 v64, 63, v[vgprSerial]                   // permute register between threads
v_lshlrev_b32 v64, 2, v64                          // permute register between threads
ds_bpermute_b32 v18, v64, v18, offset:64           // permute edge values
s_waitcnt 0                                        // wait for swizzle operation
ds_bpermute_b32 v19, v64, v19, offset:64           // permute edge values
s_waitcnt 0                                        // wait for swizzle operation
	;; [unrolled: 2-line block ×4, first 2 shown]
s_mov_b64 s[0:1], 0xFFFFFFFFFFFFFFFF               // to restore all threads active
s_or_saveexec_b64 vcc, s[0:1]                      // all threads active
s_branch label_0063                                // done shifting


/******************************************/
/* shift d1 r=1 mb=6 vw0                  */
/******************************************/
label_0044: // r1 mb6 vw0 
s_mov_b32 s0, 12                                   // 
_v_cmpx_eq_u32 s[0:1], v68, s0                     // is thread in edge glvw region
v_and_b32 v64, 63, v[vgprSerial]                   // permute register between threads
v_lshlrev_b32 v64, 2, v64                          // permute register between threads
ds_bpermute_b32 v20, v64, v20, offset:64           // permute edge values
s_waitcnt 0                                        // wait for swizzle operation
ds_bpermute_b32 v21, v64, v21, offset:64           // permute edge values
s_waitcnt 0                                        // wait for swizzle operation
	;; [unrolled: 2-line block ×4, first 2 shown]
s_mov_b64 s[0:1], 0xFFFFFFFFFFFFFFFF               // to restore all threads active
s_or_saveexec_b64 vcc, s[0:1]                      // all threads active
s_branch label_0063                                // done shifting


/******************************************/
/* shift d1 r=1 mb=7 vw0                  */
/******************************************/
label_0046: // r1 mb7 vw0 
s_mov_b32 s0, 14                                   // 
_v_cmpx_eq_u32 s[0:1], v68, s0                     // is thread in edge glvw region
v_and_b32 v64, 63, v[vgprSerial]                   // permute register between threads
v_lshlrev_b32 v64, 2, v64                          // permute register between threads
ds_bpermute_b32 v22, v64, v22, offset:64           // permute edge values
s_waitcnt 0                                        // wait for swizzle operation
ds_bpermute_b32 v23, v64, v23, offset:64           // permute edge values
s_waitcnt 0                                        // wait for swizzle operation
ds_bpermute_b32 v30, v64, v30, offset:64           // permute edge values
s_waitcnt 0                                        // wait for swizzle operation
ds_bpermute_b32 v31, v64, v31, offset:64           // permute edge values
s_waitcnt 0                                        // wait for swizzle operation
s_mov_b64 s[0:1], 0xFFFFFFFFFFFFFFFF               // to restore all threads active
s_or_saveexec_b64 vcc, s[0:1]                      // all threads active
s_branch label_0063                                // done shifting


/******************************************/
/* shift d1 r=1 mb=8 vw0                  */
/******************************************/
label_0048: // r1 mb8 vw0 
s_mov_b32 s0, 16                                   // 
_v_cmpx_eq_u32 s[0:1], v68, s0                     // is thread in edge glvw region
v_and_b32 v64, 63, v[vgprSerial]                   // permute register between threads
v_lshlrev_b32 v64, 2, v64                          // permute register between threads
ds_bpermute_b32 v32, v64, v32, offset:64           // permute edge values
s_waitcnt 0                                        // wait for swizzle operation
ds_bpermute_b32 v33, v64, v33, offset:64           // permute edge values
s_waitcnt 0                                        // wait for swizzle operation
	;; [unrolled: 2-line block ×4, first 2 shown]
s_mov_b64 s[0:1], 0xFFFFFFFFFFFFFFFF               // to restore all threads active
s_or_saveexec_b64 vcc, s[0:1]                      // all threads active
s_branch label_0063                                // done shifting


/******************************************/
/* shift d1 r=1 mb=9 vw0                  */
/******************************************/
label_0050: // r1 mb9 vw0 
s_mov_b32 s0, 18                                   // 
_v_cmpx_eq_u32 s[0:1], v68, s0                     // is thread in edge glvw region
v_and_b32 v64, 63, v[vgprSerial]                   // permute register between threads
v_lshlrev_b32 v64, 2, v64                          // permute register between threads
ds_bpermute_b32 v34, v64, v34, offset:64           // permute edge values
s_waitcnt 0                                        // wait for swizzle operation
ds_bpermute_b32 v35, v64, v35, offset:64           // permute edge values
s_waitcnt 0                                        // wait for swizzle operation
	;; [unrolled: 2-line block ×4, first 2 shown]
s_mov_b64 s[0:1], 0xFFFFFFFFFFFFFFFF               // to restore all threads active
s_or_saveexec_b64 vcc, s[0:1]                      // all threads active
s_branch label_0063                                // done shifting


/******************************************/
/* shift d1 r=1 mb=10 vw0                 */
/******************************************/
label_0052: // r1 mb10 vw0 
s_mov_b32 s0, 20                                   // 
_v_cmpx_eq_u32 s[0:1], v68, s0                     // is thread in edge glvw region
v_and_b32 v64, 63, v[vgprSerial]                   // permute register between threads
v_lshlrev_b32 v64, 2, v64                          // permute register between threads
ds_bpermute_b32 v36, v64, v36, offset:64           // permute edge values
s_waitcnt 0                                        // wait for swizzle operation
ds_bpermute_b32 v37, v64, v37, offset:64           // permute edge values
s_waitcnt 0                                        // wait for swizzle operation
	;; [unrolled: 2-line block ×4, first 2 shown]
s_mov_b64 s[0:1], 0xFFFFFFFFFFFFFFFF               // to restore all threads active
s_or_saveexec_b64 vcc, s[0:1]                      // all threads active
s_branch label_0063                                // done shifting


/******************************************/
/* shift d1 r=1 mb=11 vw0                 */
/******************************************/
label_0054: // r1 mb11 vw0 
s_mov_b32 s0, 22                                   // 
_v_cmpx_eq_u32 s[0:1], v68, s0                     // is thread in edge glvw region
v_and_b32 v64, 63, v[vgprSerial]                   // permute register between threads
v_lshlrev_b32 v64, 2, v64                          // permute register between threads
ds_bpermute_b32 v38, v64, v38, offset:64           // permute edge values
s_waitcnt 0                                        // wait for swizzle operation
ds_bpermute_b32 v39, v64, v39, offset:64           // permute edge values
s_waitcnt 0                                        // wait for swizzle operation
	;; [unrolled: 2-line block ×4, first 2 shown]
s_mov_b64 s[0:1], 0xFFFFFFFFFFFFFFFF               // to restore all threads active
s_or_saveexec_b64 vcc, s[0:1]                      // all threads active
s_branch label_0063                                // done shifting


/******************************************/
/* shift d1 r=1 mb=12 vw0                 */
/******************************************/
label_0056: // r1 mb12 vw0 
s_mov_b32 s0, 24                                   // 
_v_cmpx_eq_u32 s[0:1], v68, s0                     // is thread in edge glvw region
v_and_b32 v64, 63, v[vgprSerial]                   // permute register between threads
v_lshlrev_b32 v64, 2, v64                          // permute register between threads
ds_bpermute_b32 v48, v64, v48, offset:64           // permute edge values
s_waitcnt 0                                        // wait for swizzle operation
ds_bpermute_b32 v49, v64, v49, offset:64           // permute edge values
s_waitcnt 0                                        // wait for swizzle operation
	;; [unrolled: 2-line block ×4, first 2 shown]
s_mov_b64 s[0:1], 0xFFFFFFFFFFFFFFFF               // to restore all threads active
s_or_saveexec_b64 vcc, s[0:1]                      // all threads active
s_branch label_0063                                // done shifting


/******************************************/
/* shift d1 r=1 mb=13 vw0                 */
/******************************************/
label_0058: // r1 mb13 vw0 
s_mov_b32 s0, 26                                   // 
_v_cmpx_eq_u32 s[0:1], v68, s0                     // is thread in edge glvw region
v_and_b32 v64, 63, v[vgprSerial]                   // permute register between threads
v_lshlrev_b32 v64, 2, v64                          // permute register between threads
ds_bpermute_b32 v50, v64, v50, offset:64           // permute edge values
s_waitcnt 0                                        // wait for swizzle operation
ds_bpermute_b32 v51, v64, v51, offset:64           // permute edge values
s_waitcnt 0                                        // wait for swizzle operation
	;; [unrolled: 2-line block ×4, first 2 shown]
s_mov_b64 s[0:1], 0xFFFFFFFFFFFFFFFF               // to restore all threads active
s_or_saveexec_b64 vcc, s[0:1]                      // all threads active
s_branch label_0063                                // done shifting


/******************************************/
/* shift d1 r=1 mb=14 vw0                 */
/******************************************/
label_0060: // r1 mb14 vw0 
s_mov_b32 s0, 28                                   // 
_v_cmpx_eq_u32 s[0:1], v68, s0                     // is thread in edge glvw region
v_and_b32 v64, 63, v[vgprSerial]                   // permute register between threads
v_lshlrev_b32 v64, 2, v64                          // permute register between threads
ds_bpermute_b32 v52, v64, v52, offset:64           // permute edge values
s_waitcnt 0                                        // wait for swizzle operation
ds_bpermute_b32 v53, v64, v53, offset:64           // permute edge values
s_waitcnt 0                                        // wait for swizzle operation
	;; [unrolled: 2-line block ×4, first 2 shown]
s_mov_b64 s[0:1], 0xFFFFFFFFFFFFFFFF               // to restore all threads active
s_or_saveexec_b64 vcc, s[0:1]                      // all threads active
s_branch label_0063                                // done shifting


/******************************************/
/* shift d1 r=1 mb=15 vw0                 */
/******************************************/
label_0062: // r1 mb15 vw0 
s_mov_b32 s0, 30                                   // 
_v_cmpx_eq_u32 s[0:1], v68, s0                     // is thread in edge glvw region
v_and_b32 v64, 63, v[vgprSerial]                   // permute register between threads
v_lshlrev_b32 v64, 2, v64                          // permute register between threads
ds_bpermute_b32 v54, v64, v54, offset:64           // permute edge values
s_waitcnt 0                                        // wait for swizzle operation
ds_bpermute_b32 v55, v64, v55, offset:64           // permute edge values
s_waitcnt 0                                        // wait for swizzle operation
	;; [unrolled: 2-line block ×4, first 2 shown]
s_mov_b64 s[0:1], 0xFFFFFFFFFFFFFFFF               // to restore all threads active
s_or_saveexec_b64 vcc, s[0:1]                      // all threads active
s_branch label_0063                                // done shifting

label_0063: // end shift0



/* not-LocalSplitU: global write indices */

/* computeStoreVgprs */
v_lshrrev_b32 v66, 6, v[vgprSerial]                // v66 = v[vgprSerial] / 64
v_and_b32 v65, 63, v[vgprSerial]                   // v65 = v[vgprSerial] % 64
v_lshrrev_b32 v65, 4, v65                          // v65 = v65 / 16
                                                   // thread0 * continuous_output (multiplier is 1, do nothing)
v_lshrrev_b32 v67, 2, v66                          // v67 = v66 / 4
v_mul_lo_u32 v67, 0x10, v67                        // wave coordination offset 1
_v_add_lshl_u32 v65, v67, v65, 0                   // coordination 1 = vwb *(wave_id1 + tid1)
v_and_b32 v67, 3, v66                              // v67 = v66 % 4
v_mul_lo_u32 v67, 0x10, v67                        // wave coordination offset 0
v_and_b32 v64, 15, v[vgprSerial]                   // v64 = v[vgprSerial] % 16
_v_add_lshl_u32 v64, v67, v64, 1                   // coordination 0 = vwa *(wave_id0 + tid0)
s_mul_i32 s0, 128, s[sgprWorkGroup0]               // wgp0 * MT0
_v_add_u32 v64, s0, v64                            // coord 0 = (tid0/MI_m)*4 + waveG0*MIB_m + MT0*SG0
s_mul_i32 s0, 64, s[sgprWorkGroup1]                // wgp1 * MT1
_v_add_u32 v65, s0, v65                            // coord 1 = (tid0%MI_m) + waveG1*MIB_n + MT1*SG1
v_mov_b32 v66, s[sgprAddressD+0]                   // sgpr -> vgpr
v_mov_b32 v67, s[sgprAddressD+1]                   // sgpr -> vgpr
v_mov_b32 v68, s[sgprAddressC+0]                   // sgpr -> vgpr
v_mov_b32 v69, s[sgprAddressC+1]                   // sgpr -> vgpr


/* not-LocalSplitU: global write */

s_mov_b32 s0, s[sgprBeta+0]                        // tmp = Beta[0]
s_or_b32 s0, s[sgprBeta+1], s0                     // tmp |= Beta[1] 
s_cmpk_eq_u32 s0, 0x0                              // Beta == 0
s_cbranch_scc0 GW_Beta_110                         // Branch if Beta is not zero

s_and_b32 s38, 127, s[sgprSizeI]                   // s38 = s[sgprSizeI] % 128
s_add_u32 s39, -0x1, s[sgprNumWorkGroups0]         // 
s_cmp_ge_u32 s[sgprWorkGroup0], s39                // wg0 >= nwg0-1 ?
s_cselect_b32 s38, s38, 0                          // set rMT0
s_cmpk_gt_u32 s38, 0x0                             // rMT0 > 0
s_cbranch_scc1 GW_B0_E1_101                        // jump if edges required
s_and_b32 s38, 63, s[sgprSizeJ]                    // s38 = s[sgprSizeJ] % 64
s_add_u32 s39, -0x1, s[sgprNumWorkGroups1]         // 
s_cmp_ge_u32 s[sgprWorkGroup1], s39                // wg1 >= nwg1-1
s_cselect_b32 s38, s38, 0                          // set rMT1
s_cmpk_gt_u32 s38, 0x0                             // rMT1 > 0
s_cbranch_scc1 GW_B0_E1_101                        // jump if edges required
GW_B0_E0_98:

/* edge=0, allocate 12 sgpr. perBatchTmpS=4 perBatchMaskS=0 perElementMaskS=2 elementsPerBatch=4 */
/* optSingleColVgpr=0 optSharedColVgpr=0 optSGPRUsage=None optSrdIncForRow=0 */
s_sleep 7 // optimization: sync and wait
s_barrier

/******************************************/
/* Global Write Alpha Batch #0 (d1,d0,vc1,vc0) = */
/*    (0,0,0,0:vw2); (1,0,0,0:vw2); (2,0,0,0:vw2); (3,0,0,0:vw2) */
/******************************************/

/* calc coords, apply mask, and issue loads (if necessary) */
/* (d1,vc1,d0,vc0)=(0,0,0,0) */
GLOBAL_OFFSET_D 76, 64, 65, sgprWorkGroup2, 72
v_mov_b32 v72, v76                                 // temp store offset 0
v_mov_b32 v73, v77                                 // temp store offset 1
_v_add_co_u32 v76, vcc, v66, v72                   // addrVgpr = D + index*bytes (lo)
_v_addc_co_u32 v77, vcc, v67, v73, vcc             // addrVgpr = D + index*bytes (hi)
/* (d1,vc1,d0,vc0)=(1,0,0,0) */
_v_add_co_u32 v65, vcc, v65, 4                     // coord1.1: coord1Vgpr += d1*sg1*VW + vc1
GLOBAL_OFFSET_D 78, 64, 65, sgprWorkGroup2, 72
v_mov_b32 v72, v78                                 // temp store offset 0
v_mov_b32 v73, v79                                 // temp store offset 1
_v_add_co_u32 v78, vcc, v66, v72                   // addrVgpr = D + index*bytes (lo)
_v_addc_co_u32 v79, vcc, v67, v73, vcc             // addrVgpr = D + index*bytes (hi)
/* (d1,vc1,d0,vc0)=(2,0,0,0) */
_v_add_co_u32 v65, vcc, v65, 4                     // coord1.1: coord1Vgpr += d1*sg1*VW + vc1
GLOBAL_OFFSET_D 88, 64, 65, sgprWorkGroup2, 72
v_mov_b32 v72, v88                                 // temp store offset 0
v_mov_b32 v73, v89                                 // temp store offset 1
_v_add_co_u32 v88, vcc, v66, v72                   // addrVgpr = D + index*bytes (lo)
_v_addc_co_u32 v89, vcc, v67, v73, vcc             // addrVgpr = D + index*bytes (hi)
/* (d1,vc1,d0,vc0)=(3,0,0,0) */
_v_add_co_u32 v65, vcc, v65, 4                     // coord1.1: coord1Vgpr += d1*sg1*VW + vc1
GLOBAL_OFFSET_D 90, 64, 65, sgprWorkGroup2, 72
v_mov_b32 v72, v90                                 // temp store offset 0
v_mov_b32 v73, v91                                 // temp store offset 1
_v_add_co_u32 v90, vcc, v66, v72                   // addrVgpr = D + index*bytes (lo)
_v_addc_co_u32 v91, vcc, v67, v73, vcc             // addrVgpr = D + index*bytes (hi)

/* rC *= alpha batchElements=[(0, 0, 0, 0), (1, 0, 0, 0), (2, 0, 0, 0), (3, 0, 0, 0)] */
v_mul_f64 v[vgprValuC+80:vgprValuC+80+1], s[sgprAlpha:sgprAlpha+1], v[vgprValuC+0:vgprValuC+0+1] // Multiply MI out reg with alpha
v_mul_f64 v[vgprValuC+82:vgprValuC+82+1], s[sgprAlpha:sgprAlpha+1], v[vgprValuC+8:vgprValuC+8+1] // Multiply MI out reg with alpha
v_mul_f64 v[vgprValuC+84:vgprValuC+84+1], s[sgprAlpha:sgprAlpha+1], v[vgprValuC+2:vgprValuC+2+1] // Multiply MI out reg with alpha
v_mul_f64 v[vgprValuC+86:vgprValuC+86+1], s[sgprAlpha:sgprAlpha+1], v[vgprValuC+10:vgprValuC+10+1] // Multiply MI out reg with alpha
v_mul_f64 v[vgprValuC+92:vgprValuC+92+1], s[sgprAlpha:sgprAlpha+1], v[vgprValuC+4:vgprValuC+4+1] // Multiply MI out reg with alpha
v_mul_f64 v[vgprValuC+94:vgprValuC+94+1], s[sgprAlpha:sgprAlpha+1], v[vgprValuC+12:vgprValuC+12+1] // Multiply MI out reg with alpha
v_mul_f64 v[vgprValuC+96:vgprValuC+96+1], s[sgprAlpha:sgprAlpha+1], v[vgprValuC+6:vgprValuC+6+1] // Multiply MI out reg with alpha
v_mul_f64 v[vgprValuC+98:vgprValuC+98+1], s[sgprAlpha:sgprAlpha+1], v[vgprValuC+14:vgprValuC+14+1] // Multiply MI out reg with alpha

/* apply mask, calc new C and issue writes */
_global_store_b128 v[76:77], v[80:83], off,  sc0 sc1 // store D
_global_store_b128 v[78:79], v[84:87], off,  sc0 sc1 // store D
_global_store_b128 v[88:89], v[92:95], off,  sc0 sc1 // store D
_global_store_b128 v[90:91], v[96:99], off,  sc0 sc1 // store D
s_nop 0                                            // 1 wait state required when next inst writes vgprs held by previous dwordx4 store inst
/* optSingleColVgpr=0 optSharedColVgpr=0 optSGPRUsage=None optSrdIncForRow=0 */
s_sleep 7 // optimization: sync and wait
s_barrier

/******************************************/
/* Global Write Alpha Batch #1 (d1,d0,vc1,vc0) = */
/*    (4,0,0,0:vw2); (5,0,0,0:vw2); (6,0,0,0:vw2); (7,0,0,0:vw2) */
/******************************************/

/* calc coords, apply mask, and issue loads (if necessary) */
/* (d1,vc1,d0,vc0)=(4,0,0,0) */
_v_add_co_u32 v65, vcc, v65, 4                     // coord1.1: coord1Vgpr += d1*sg1*VW + vc1
GLOBAL_OFFSET_D 76, 64, 65, sgprWorkGroup2, 72
v_mov_b32 v72, v76                                 // temp store offset 0
v_mov_b32 v73, v77                                 // temp store offset 1
_v_add_co_u32 v76, vcc, v66, v72                   // addrVgpr = D + index*bytes (lo)
_v_addc_co_u32 v77, vcc, v67, v73, vcc             // addrVgpr = D + index*bytes (hi)
/* (d1,vc1,d0,vc0)=(5,0,0,0) */
_v_add_co_u32 v65, vcc, v65, 4                     // coord1.1: coord1Vgpr += d1*sg1*VW + vc1
GLOBAL_OFFSET_D 78, 64, 65, sgprWorkGroup2, 72
v_mov_b32 v72, v78                                 // temp store offset 0
v_mov_b32 v73, v79                                 // temp store offset 1
_v_add_co_u32 v78, vcc, v66, v72                   // addrVgpr = D + index*bytes (lo)
_v_addc_co_u32 v79, vcc, v67, v73, vcc             // addrVgpr = D + index*bytes (hi)
/* (d1,vc1,d0,vc0)=(6,0,0,0) */
_v_add_co_u32 v65, vcc, v65, 4                     // coord1.1: coord1Vgpr += d1*sg1*VW + vc1
GLOBAL_OFFSET_D 88, 64, 65, sgprWorkGroup2, 72
v_mov_b32 v72, v88                                 // temp store offset 0
v_mov_b32 v73, v89                                 // temp store offset 1
_v_add_co_u32 v88, vcc, v66, v72                   // addrVgpr = D + index*bytes (lo)
_v_addc_co_u32 v89, vcc, v67, v73, vcc             // addrVgpr = D + index*bytes (hi)
/* (d1,vc1,d0,vc0)=(7,0,0,0) */
_v_add_co_u32 v65, vcc, v65, 4                     // coord1.1: coord1Vgpr += d1*sg1*VW + vc1
GLOBAL_OFFSET_D 90, 64, 65, sgprWorkGroup2, 72
v_mov_b32 v72, v90                                 // temp store offset 0
v_mov_b32 v73, v91                                 // temp store offset 1
_v_add_co_u32 v90, vcc, v66, v72                   // addrVgpr = D + index*bytes (lo)
_v_addc_co_u32 v91, vcc, v67, v73, vcc             // addrVgpr = D + index*bytes (hi)

/* rC *= alpha batchElements=[(4, 0, 0, 0), (5, 0, 0, 0), (6, 0, 0, 0), (7, 0, 0, 0)] */
v_mul_f64 v[vgprValuC+80:vgprValuC+80+1], s[sgprAlpha:sgprAlpha+1], v[vgprValuC+16:vgprValuC+16+1] // Multiply MI out reg with alpha
v_mul_f64 v[vgprValuC+82:vgprValuC+82+1], s[sgprAlpha:sgprAlpha+1], v[vgprValuC+24:vgprValuC+24+1] // Multiply MI out reg with alpha
v_mul_f64 v[vgprValuC+84:vgprValuC+84+1], s[sgprAlpha:sgprAlpha+1], v[vgprValuC+18:vgprValuC+18+1] // Multiply MI out reg with alpha
v_mul_f64 v[vgprValuC+86:vgprValuC+86+1], s[sgprAlpha:sgprAlpha+1], v[vgprValuC+26:vgprValuC+26+1] // Multiply MI out reg with alpha
v_mul_f64 v[vgprValuC+92:vgprValuC+92+1], s[sgprAlpha:sgprAlpha+1], v[vgprValuC+20:vgprValuC+20+1] // Multiply MI out reg with alpha
v_mul_f64 v[vgprValuC+94:vgprValuC+94+1], s[sgprAlpha:sgprAlpha+1], v[vgprValuC+28:vgprValuC+28+1] // Multiply MI out reg with alpha
v_mul_f64 v[vgprValuC+96:vgprValuC+96+1], s[sgprAlpha:sgprAlpha+1], v[vgprValuC+22:vgprValuC+22+1] // Multiply MI out reg with alpha
v_mul_f64 v[vgprValuC+98:vgprValuC+98+1], s[sgprAlpha:sgprAlpha+1], v[vgprValuC+30:vgprValuC+30+1] // Multiply MI out reg with alpha

/* apply mask, calc new C and issue writes */
_global_store_b128 v[76:77], v[80:83], off,  sc0 sc1 // store D
_global_store_b128 v[78:79], v[84:87], off,  sc0 sc1 // store D
_global_store_b128 v[88:89], v[92:95], off,  sc0 sc1 // store D
_global_store_b128 v[90:91], v[96:99], off,  sc0 sc1 // store D
s_nop 0                                            // 1 wait state required when next inst writes vgprs held by previous dwordx4 store inst
/* optSingleColVgpr=0 optSharedColVgpr=0 optSGPRUsage=None optSrdIncForRow=0 */
s_sleep 7 // optimization: sync and wait
s_barrier

/******************************************/
/* Global Write Alpha Batch #2 (d1,d0,vc1,vc0) = */
/*    (8,0,0,0:vw2); (9,0,0,0:vw2); (10,0,0,0:vw2); (11,0,0,0:vw2) */
/******************************************/

/* calc coords, apply mask, and issue loads (if necessary) */
/* (d1,vc1,d0,vc0)=(8,0,0,0) */
_v_add_co_u32 v65, vcc, v65, 4                     // coord1.1: coord1Vgpr += d1*sg1*VW + vc1
GLOBAL_OFFSET_D 76, 64, 65, sgprWorkGroup2, 72
v_mov_b32 v72, v76                                 // temp store offset 0
v_mov_b32 v73, v77                                 // temp store offset 1
_v_add_co_u32 v76, vcc, v66, v72                   // addrVgpr = D + index*bytes (lo)
_v_addc_co_u32 v77, vcc, v67, v73, vcc             // addrVgpr = D + index*bytes (hi)
/* (d1,vc1,d0,vc0)=(9,0,0,0) */
_v_add_co_u32 v65, vcc, v65, 4                     // coord1.1: coord1Vgpr += d1*sg1*VW + vc1
GLOBAL_OFFSET_D 78, 64, 65, sgprWorkGroup2, 72
v_mov_b32 v72, v78                                 // temp store offset 0
v_mov_b32 v73, v79                                 // temp store offset 1
_v_add_co_u32 v78, vcc, v66, v72                   // addrVgpr = D + index*bytes (lo)
_v_addc_co_u32 v79, vcc, v67, v73, vcc             // addrVgpr = D + index*bytes (hi)
/* (d1,vc1,d0,vc0)=(10,0,0,0) */
_v_add_co_u32 v65, vcc, v65, 4                     // coord1.1: coord1Vgpr += d1*sg1*VW + vc1
GLOBAL_OFFSET_D 88, 64, 65, sgprWorkGroup2, 72
v_mov_b32 v72, v88                                 // temp store offset 0
v_mov_b32 v73, v89                                 // temp store offset 1
_v_add_co_u32 v88, vcc, v66, v72                   // addrVgpr = D + index*bytes (lo)
_v_addc_co_u32 v89, vcc, v67, v73, vcc             // addrVgpr = D + index*bytes (hi)
/* (d1,vc1,d0,vc0)=(11,0,0,0) */
_v_add_co_u32 v65, vcc, v65, 4                     // coord1.1: coord1Vgpr += d1*sg1*VW + vc1
GLOBAL_OFFSET_D 90, 64, 65, sgprWorkGroup2, 72
v_mov_b32 v72, v90                                 // temp store offset 0
v_mov_b32 v73, v91                                 // temp store offset 1
_v_add_co_u32 v90, vcc, v66, v72                   // addrVgpr = D + index*bytes (lo)
_v_addc_co_u32 v91, vcc, v67, v73, vcc             // addrVgpr = D + index*bytes (hi)

/* rC *= alpha batchElements=[(8, 0, 0, 0), (9, 0, 0, 0), (10, 0, 0, 0), (11, 0, 0, 0)] */
v_mul_f64 v[vgprValuC+80:vgprValuC+80+1], s[sgprAlpha:sgprAlpha+1], v[vgprValuC+32:vgprValuC+32+1] // Multiply MI out reg with alpha
v_mul_f64 v[vgprValuC+82:vgprValuC+82+1], s[sgprAlpha:sgprAlpha+1], v[vgprValuC+40:vgprValuC+40+1] // Multiply MI out reg with alpha
v_mul_f64 v[vgprValuC+84:vgprValuC+84+1], s[sgprAlpha:sgprAlpha+1], v[vgprValuC+34:vgprValuC+34+1] // Multiply MI out reg with alpha
v_mul_f64 v[vgprValuC+86:vgprValuC+86+1], s[sgprAlpha:sgprAlpha+1], v[vgprValuC+42:vgprValuC+42+1] // Multiply MI out reg with alpha
v_mul_f64 v[vgprValuC+92:vgprValuC+92+1], s[sgprAlpha:sgprAlpha+1], v[vgprValuC+36:vgprValuC+36+1] // Multiply MI out reg with alpha
v_mul_f64 v[vgprValuC+94:vgprValuC+94+1], s[sgprAlpha:sgprAlpha+1], v[vgprValuC+44:vgprValuC+44+1] // Multiply MI out reg with alpha
v_mul_f64 v[vgprValuC+96:vgprValuC+96+1], s[sgprAlpha:sgprAlpha+1], v[vgprValuC+38:vgprValuC+38+1] // Multiply MI out reg with alpha
v_mul_f64 v[vgprValuC+98:vgprValuC+98+1], s[sgprAlpha:sgprAlpha+1], v[vgprValuC+46:vgprValuC+46+1] // Multiply MI out reg with alpha

/* apply mask, calc new C and issue writes */
_global_store_b128 v[76:77], v[80:83], off,  sc0 sc1 // store D
_global_store_b128 v[78:79], v[84:87], off,  sc0 sc1 // store D
_global_store_b128 v[88:89], v[92:95], off,  sc0 sc1 // store D
_global_store_b128 v[90:91], v[96:99], off,  sc0 sc1 // store D
s_nop 0                                            // 1 wait state required when next inst writes vgprs held by previous dwordx4 store inst
/* optSingleColVgpr=0 optSharedColVgpr=0 optSGPRUsage=None optSrdIncForRow=0 */
s_sleep 7 // optimization: sync and wait
s_barrier

/******************************************/
/* Global Write Alpha Batch #3 (d1,d0,vc1,vc0) = */
/*    (12,0,0,0:vw2); (13,0,0,0:vw2); (14,0,0,0:vw2); (15,0,0,0:vw2) */
/******************************************/

/* calc coords, apply mask, and issue loads (if necessary) */
/* (d1,vc1,d0,vc0)=(12,0,0,0) */
_v_add_co_u32 v65, vcc, v65, 4                     // coord1.1: coord1Vgpr += d1*sg1*VW + vc1
GLOBAL_OFFSET_D 76, 64, 65, sgprWorkGroup2, 72
v_mov_b32 v72, v76                                 // temp store offset 0
v_mov_b32 v73, v77                                 // temp store offset 1
_v_add_co_u32 v76, vcc, v66, v72                   // addrVgpr = D + index*bytes (lo)
_v_addc_co_u32 v77, vcc, v67, v73, vcc             // addrVgpr = D + index*bytes (hi)
/* (d1,vc1,d0,vc0)=(13,0,0,0) */
_v_add_co_u32 v65, vcc, v65, 4                     // coord1.1: coord1Vgpr += d1*sg1*VW + vc1
GLOBAL_OFFSET_D 78, 64, 65, sgprWorkGroup2, 72
v_mov_b32 v72, v78                                 // temp store offset 0
v_mov_b32 v73, v79                                 // temp store offset 1
_v_add_co_u32 v78, vcc, v66, v72                   // addrVgpr = D + index*bytes (lo)
_v_addc_co_u32 v79, vcc, v67, v73, vcc             // addrVgpr = D + index*bytes (hi)
/* (d1,vc1,d0,vc0)=(14,0,0,0) */
_v_add_co_u32 v65, vcc, v65, 4                     // coord1.1: coord1Vgpr += d1*sg1*VW + vc1
	;; [unrolled: 7-line block ×3, first 2 shown]
GLOBAL_OFFSET_D 90, 64, 65, sgprWorkGroup2, 72
v_mov_b32 v72, v90                                 // temp store offset 0
v_mov_b32 v73, v91                                 // temp store offset 1
_v_add_co_u32 v90, vcc, v66, v72                   // addrVgpr = D + index*bytes (lo)
_v_addc_co_u32 v91, vcc, v67, v73, vcc             // addrVgpr = D + index*bytes (hi)

/* rC *= alpha batchElements=[(12, 0, 0, 0), (13, 0, 0, 0), (14, 0, 0, 0), (15, 0, 0, 0)] */
v_mul_f64 v[vgprValuC+80:vgprValuC+80+1], s[sgprAlpha:sgprAlpha+1], v[vgprValuC+48:vgprValuC+48+1] // Multiply MI out reg with alpha
v_mul_f64 v[vgprValuC+82:vgprValuC+82+1], s[sgprAlpha:sgprAlpha+1], v[vgprValuC+56:vgprValuC+56+1] // Multiply MI out reg with alpha
	;; [unrolled: 1-line block ×8, first 2 shown]

/* apply mask, calc new C and issue writes */
_global_store_b128 v[76:77], v[80:83], off,  sc0 sc1 // store D
_global_store_b128 v[78:79], v[84:87], off,  sc0 sc1 // store D
	;; [unrolled: 1-line block ×4, first 2 shown]
s_nop 0                                            // 1 wait state required when next inst writes vgprs held by previous dwordx4 store inst
s_branch label_GW_End_109                          // jump to end
GW_B0_E1_101:

/* edge=1, allocate 12 sgpr. perBatchTmpS=4 perBatchMaskS=0 perElementMaskS=2 elementsPerBatch=4 */
/* optSingleColVgpr=0 optSharedColVgpr=0 optSGPRUsage=None optSrdIncForRow=0 */
s_sleep 7 // optimization: sync and wait
s_barrier

/******************************************/
/* Global Write Alpha Edge Batch #0 (d1,d0,vc1,vc0) = */
/*    (0,0,0,0:vw1); (0,0,0,1:vw1); (1,0,0,0:vw1); (1,0,0,1:vw1) */
/******************************************/

/* calc coords, apply mask, and issue loads (if necessary) */
/* (d1,vc1,d0,vc0)=(0,0,0,0) */
GLOBAL_OFFSET_D 76, 64, 65, sgprWorkGroup2, 72
v_mov_b32 v72, v76                                 // temp store offset 0
v_mov_b32 v73, v77                                 // temp store offset 1
v_cmp_lt_u32 s[38:39], v64, s[sgprSizesFree+0]     // coord0 < size0
v_cmp_lt_u32 s[40:41], v65, s[sgprSizesFree+1]     // coord1 < size1
s_and_b64 s[42:43], s[38:39], s[40:41]             // in0 && in1
_v_add_co_u32 v76, vcc, v66, v72                   // addrVgpr = D + index*bytes (lo)
_v_addc_co_u32 v77, vcc, v67, v73, vcc             // addrVgpr = D + index*bytes (hi)
/* (d1,vc1,d0,vc0)=(0,0,0,1) */
_v_add_co_u32 v70, vcc, v64, 1                     // coord0.1: coord0 += d0*sg0*VW + vc0
GLOBAL_OFFSET_D 80, 70, 65, sgprWorkGroup2, 72
v_mov_b32 v72, v80                                 // temp store offset 0
v_mov_b32 v73, v81                                 // temp store offset 1
v_cmp_lt_u32 s[38:39], v70, s[sgprSizesFree+0]     // coord0 < size0
v_cmp_lt_u32 s[40:41], v65, s[sgprSizesFree+1]     // coord1 < size1
s_and_b64 s[44:45], s[38:39], s[40:41]             // in0 && in1
_v_add_co_u32 v80, vcc, v66, v72                   // addrVgpr = D + index*bytes (lo)
_v_addc_co_u32 v81, vcc, v67, v73, vcc             // addrVgpr = D + index*bytes (hi)
/* (d1,vc1,d0,vc0)=(1,0,0,0) */
_v_add_co_u32 v65, vcc, v65, 4                     // coord1.1: coord1Vgpr += d1*sg1*VW + vc1
GLOBAL_OFFSET_D 84, 64, 65, sgprWorkGroup2, 72
v_mov_b32 v72, v84                                 // temp store offset 0
v_mov_b32 v73, v85                                 // temp store offset 1
v_cmp_lt_u32 s[38:39], v64, s[sgprSizesFree+0]     // coord0 < size0
v_cmp_lt_u32 s[40:41], v65, s[sgprSizesFree+1]     // coord1 < size1
s_and_b64 s[46:47], s[38:39], s[40:41]             // in0 && in1
_v_add_co_u32 v84, vcc, v66, v72                   // addrVgpr = D + index*bytes (lo)
_v_addc_co_u32 v85, vcc, v67, v73, vcc             // addrVgpr = D + index*bytes (hi)
/* (d1,vc1,d0,vc0)=(1,0,0,1) */
_v_add_co_u32 v70, vcc, v64, 1                     // coord0.1: coord0 += d0*sg0*VW + vc0
GLOBAL_OFFSET_D 88, 70, 65, sgprWorkGroup2, 72
v_mov_b32 v72, v88                                 // temp store offset 0
v_mov_b32 v73, v89                                 // temp store offset 1
v_cmp_lt_u32 s[38:39], v70, s[sgprSizesFree+0]     // coord0 < size0
v_cmp_lt_u32 s[40:41], v65, s[sgprSizesFree+1]     // coord1 < size1
s_and_b64 s[48:49], s[38:39], s[40:41]             // in0 && in1
_v_add_co_u32 v88, vcc, v66, v72                   // addrVgpr = D + index*bytes (lo)
_v_addc_co_u32 v89, vcc, v67, v73, vcc             // addrVgpr = D + index*bytes (hi)

/* rC *= alpha batchElements=[(0, 0, 0, 0), (0, 0, 0, 1), (1, 0, 0, 0), (1, 0, 0, 1)] */
v_mul_f64 v[vgprValuC+78:vgprValuC+78+1], s[sgprAlpha:sgprAlpha+1], v[vgprValuC+0:vgprValuC+0+1] // Multiply MI out reg with alpha
v_mul_f64 v[vgprValuC+82:vgprValuC+82+1], s[sgprAlpha:sgprAlpha+1], v[vgprValuC+8:vgprValuC+8+1] // Multiply MI out reg with alpha
	;; [unrolled: 1-line block ×4, first 2 shown]

/* apply mask, calc new C and issue writes */
s_mov_b64 exec, s[42:43]                           // sgprs -> exec
_global_store_b64 v[76:77], v[78:79], off,  sc0 sc1 // store D
s_mov_b64 exec, s[44:45]                           // sgprs -> exec
_global_store_b64 v[80:81], v[82:83], off,  sc0 sc1 // store D
	;; [unrolled: 2-line block ×4, first 2 shown]
s_mov_b64 exec, -1                                 // full mask -> exec
s_nop 0                                            // 1 wait state required when next inst writes vgprs held by previous dwordx4 store inst
/* optSingleColVgpr=0 optSharedColVgpr=0 optSGPRUsage=None optSrdIncForRow=0 */
s_sleep 7 // optimization: sync and wait
s_barrier

/******************************************/
/* Global Write Alpha Edge Batch #1 (d1,d0,vc1,vc0) = */
/*    (2,0,0,0:vw1); (2,0,0,1:vw1); (3,0,0,0:vw1); (3,0,0,1:vw1) */
/******************************************/

/* calc coords, apply mask, and issue loads (if necessary) */
/* (d1,vc1,d0,vc0)=(2,0,0,0) */
_v_add_co_u32 v65, vcc, v65, 4                     // coord1.1: coord1Vgpr += d1*sg1*VW + vc1
GLOBAL_OFFSET_D 76, 64, 65, sgprWorkGroup2, 72
v_mov_b32 v72, v76                                 // temp store offset 0
v_mov_b32 v73, v77                                 // temp store offset 1
v_cmp_lt_u32 s[38:39], v64, s[sgprSizesFree+0]     // coord0 < size0
v_cmp_lt_u32 s[40:41], v65, s[sgprSizesFree+1]     // coord1 < size1
s_and_b64 s[42:43], s[38:39], s[40:41]             // in0 && in1
_v_add_co_u32 v76, vcc, v66, v72                   // addrVgpr = D + index*bytes (lo)
_v_addc_co_u32 v77, vcc, v67, v73, vcc             // addrVgpr = D + index*bytes (hi)
/* (d1,vc1,d0,vc0)=(2,0,0,1) */
_v_add_co_u32 v70, vcc, v64, 1                     // coord0.1: coord0 += d0*sg0*VW + vc0
GLOBAL_OFFSET_D 80, 70, 65, sgprWorkGroup2, 72
v_mov_b32 v72, v80                                 // temp store offset 0
v_mov_b32 v73, v81                                 // temp store offset 1
v_cmp_lt_u32 s[38:39], v70, s[sgprSizesFree+0]     // coord0 < size0
v_cmp_lt_u32 s[40:41], v65, s[sgprSizesFree+1]     // coord1 < size1
s_and_b64 s[44:45], s[38:39], s[40:41]             // in0 && in1
_v_add_co_u32 v80, vcc, v66, v72                   // addrVgpr = D + index*bytes (lo)
_v_addc_co_u32 v81, vcc, v67, v73, vcc             // addrVgpr = D + index*bytes (hi)
/* (d1,vc1,d0,vc0)=(3,0,0,0) */
_v_add_co_u32 v65, vcc, v65, 4                     // coord1.1: coord1Vgpr += d1*sg1*VW + vc1
GLOBAL_OFFSET_D 84, 64, 65, sgprWorkGroup2, 72
v_mov_b32 v72, v84                                 // temp store offset 0
v_mov_b32 v73, v85                                 // temp store offset 1
v_cmp_lt_u32 s[38:39], v64, s[sgprSizesFree+0]     // coord0 < size0
v_cmp_lt_u32 s[40:41], v65, s[sgprSizesFree+1]     // coord1 < size1
s_and_b64 s[46:47], s[38:39], s[40:41]             // in0 && in1
_v_add_co_u32 v84, vcc, v66, v72                   // addrVgpr = D + index*bytes (lo)
_v_addc_co_u32 v85, vcc, v67, v73, vcc             // addrVgpr = D + index*bytes (hi)
/* (d1,vc1,d0,vc0)=(3,0,0,1) */
_v_add_co_u32 v70, vcc, v64, 1                     // coord0.1: coord0 += d0*sg0*VW + vc0
GLOBAL_OFFSET_D 88, 70, 65, sgprWorkGroup2, 72
v_mov_b32 v72, v88                                 // temp store offset 0
v_mov_b32 v73, v89                                 // temp store offset 1
v_cmp_lt_u32 s[38:39], v70, s[sgprSizesFree+0]     // coord0 < size0
v_cmp_lt_u32 s[40:41], v65, s[sgprSizesFree+1]     // coord1 < size1
s_and_b64 s[48:49], s[38:39], s[40:41]             // in0 && in1
_v_add_co_u32 v88, vcc, v66, v72                   // addrVgpr = D + index*bytes (lo)
_v_addc_co_u32 v89, vcc, v67, v73, vcc             // addrVgpr = D + index*bytes (hi)

/* rC *= alpha batchElements=[(2, 0, 0, 0), (2, 0, 0, 1), (3, 0, 0, 0), (3, 0, 0, 1)] */
v_mul_f64 v[vgprValuC+78:vgprValuC+78+1], s[sgprAlpha:sgprAlpha+1], v[vgprValuC+4:vgprValuC+4+1] // Multiply MI out reg with alpha
v_mul_f64 v[vgprValuC+82:vgprValuC+82+1], s[sgprAlpha:sgprAlpha+1], v[vgprValuC+12:vgprValuC+12+1] // Multiply MI out reg with alpha
	;; [unrolled: 1-line block ×4, first 2 shown]

/* apply mask, calc new C and issue writes */
s_mov_b64 exec, s[42:43]                           // sgprs -> exec
_global_store_b64 v[76:77], v[78:79], off,  sc0 sc1 // store D
s_mov_b64 exec, s[44:45]                           // sgprs -> exec
_global_store_b64 v[80:81], v[82:83], off,  sc0 sc1 // store D
s_mov_b64 exec, s[46:47]                           // sgprs -> exec
_global_store_b64 v[84:85], v[86:87], off,  sc0 sc1 // store D
s_mov_b64 exec, s[48:49]                           // sgprs -> exec
_global_store_b64 v[88:89], v[90:91], off,  sc0 sc1 // store D
s_mov_b64 exec, -1                                 // full mask -> exec
s_nop 0                                            // 1 wait state required when next inst writes vgprs held by previous dwordx4 store inst
/* optSingleColVgpr=0 optSharedColVgpr=0 optSGPRUsage=None optSrdIncForRow=0 */
s_sleep 7 // optimization: sync and wait
s_barrier

/******************************************/
/* Global Write Alpha Edge Batch #2 (d1,d0,vc1,vc0) = */
/*    (4,0,0,0:vw1); (4,0,0,1:vw1); (5,0,0,0:vw1); (5,0,0,1:vw1) */
/******************************************/

/* calc coords, apply mask, and issue loads (if necessary) */
/* (d1,vc1,d0,vc0)=(4,0,0,0) */
_v_add_co_u32 v65, vcc, v65, 4                     // coord1.1: coord1Vgpr += d1*sg1*VW + vc1
GLOBAL_OFFSET_D 76, 64, 65, sgprWorkGroup2, 72
v_mov_b32 v72, v76                                 // temp store offset 0
v_mov_b32 v73, v77                                 // temp store offset 1
v_cmp_lt_u32 s[38:39], v64, s[sgprSizesFree+0]     // coord0 < size0
v_cmp_lt_u32 s[40:41], v65, s[sgprSizesFree+1]     // coord1 < size1
s_and_b64 s[42:43], s[38:39], s[40:41]             // in0 && in1
_v_add_co_u32 v76, vcc, v66, v72                   // addrVgpr = D + index*bytes (lo)
_v_addc_co_u32 v77, vcc, v67, v73, vcc             // addrVgpr = D + index*bytes (hi)
/* (d1,vc1,d0,vc0)=(4,0,0,1) */
_v_add_co_u32 v70, vcc, v64, 1                     // coord0.1: coord0 += d0*sg0*VW + vc0
GLOBAL_OFFSET_D 80, 70, 65, sgprWorkGroup2, 72
v_mov_b32 v72, v80                                 // temp store offset 0
v_mov_b32 v73, v81                                 // temp store offset 1
v_cmp_lt_u32 s[38:39], v70, s[sgprSizesFree+0]     // coord0 < size0
v_cmp_lt_u32 s[40:41], v65, s[sgprSizesFree+1]     // coord1 < size1
s_and_b64 s[44:45], s[38:39], s[40:41]             // in0 && in1
_v_add_co_u32 v80, vcc, v66, v72                   // addrVgpr = D + index*bytes (lo)
_v_addc_co_u32 v81, vcc, v67, v73, vcc             // addrVgpr = D + index*bytes (hi)
/* (d1,vc1,d0,vc0)=(5,0,0,0) */
_v_add_co_u32 v65, vcc, v65, 4                     // coord1.1: coord1Vgpr += d1*sg1*VW + vc1
GLOBAL_OFFSET_D 84, 64, 65, sgprWorkGroup2, 72
v_mov_b32 v72, v84                                 // temp store offset 0
v_mov_b32 v73, v85                                 // temp store offset 1
v_cmp_lt_u32 s[38:39], v64, s[sgprSizesFree+0]     // coord0 < size0
v_cmp_lt_u32 s[40:41], v65, s[sgprSizesFree+1]     // coord1 < size1
s_and_b64 s[46:47], s[38:39], s[40:41]             // in0 && in1
_v_add_co_u32 v84, vcc, v66, v72                   // addrVgpr = D + index*bytes (lo)
_v_addc_co_u32 v85, vcc, v67, v73, vcc             // addrVgpr = D + index*bytes (hi)
/* (d1,vc1,d0,vc0)=(5,0,0,1) */
_v_add_co_u32 v70, vcc, v64, 1                     // coord0.1: coord0 += d0*sg0*VW + vc0
GLOBAL_OFFSET_D 88, 70, 65, sgprWorkGroup2, 72
v_mov_b32 v72, v88                                 // temp store offset 0
v_mov_b32 v73, v89                                 // temp store offset 1
v_cmp_lt_u32 s[38:39], v70, s[sgprSizesFree+0]     // coord0 < size0
v_cmp_lt_u32 s[40:41], v65, s[sgprSizesFree+1]     // coord1 < size1
s_and_b64 s[48:49], s[38:39], s[40:41]             // in0 && in1
_v_add_co_u32 v88, vcc, v66, v72                   // addrVgpr = D + index*bytes (lo)
_v_addc_co_u32 v89, vcc, v67, v73, vcc             // addrVgpr = D + index*bytes (hi)

/* rC *= alpha batchElements=[(4, 0, 0, 0), (4, 0, 0, 1), (5, 0, 0, 0), (5, 0, 0, 1)] */
v_mul_f64 v[vgprValuC+78:vgprValuC+78+1], s[sgprAlpha:sgprAlpha+1], v[vgprValuC+16:vgprValuC+16+1] // Multiply MI out reg with alpha
v_mul_f64 v[vgprValuC+82:vgprValuC+82+1], s[sgprAlpha:sgprAlpha+1], v[vgprValuC+24:vgprValuC+24+1] // Multiply MI out reg with alpha
	;; [unrolled: 1-line block ×4, first 2 shown]

/* apply mask, calc new C and issue writes */
s_mov_b64 exec, s[42:43]                           // sgprs -> exec
_global_store_b64 v[76:77], v[78:79], off,  sc0 sc1 // store D
s_mov_b64 exec, s[44:45]                           // sgprs -> exec
_global_store_b64 v[80:81], v[82:83], off,  sc0 sc1 // store D
	;; [unrolled: 2-line block ×4, first 2 shown]
s_mov_b64 exec, -1                                 // full mask -> exec
s_nop 0                                            // 1 wait state required when next inst writes vgprs held by previous dwordx4 store inst
/* optSingleColVgpr=0 optSharedColVgpr=0 optSGPRUsage=None optSrdIncForRow=0 */
s_sleep 7 // optimization: sync and wait
s_barrier

/******************************************/
/* Global Write Alpha Edge Batch #3 (d1,d0,vc1,vc0) = */
/*    (6,0,0,0:vw1); (6,0,0,1:vw1); (7,0,0,0:vw1); (7,0,0,1:vw1) */
/******************************************/

/* calc coords, apply mask, and issue loads (if necessary) */
/* (d1,vc1,d0,vc0)=(6,0,0,0) */
_v_add_co_u32 v65, vcc, v65, 4                     // coord1.1: coord1Vgpr += d1*sg1*VW + vc1
GLOBAL_OFFSET_D 76, 64, 65, sgprWorkGroup2, 72
v_mov_b32 v72, v76                                 // temp store offset 0
v_mov_b32 v73, v77                                 // temp store offset 1
v_cmp_lt_u32 s[38:39], v64, s[sgprSizesFree+0]     // coord0 < size0
v_cmp_lt_u32 s[40:41], v65, s[sgprSizesFree+1]     // coord1 < size1
s_and_b64 s[42:43], s[38:39], s[40:41]             // in0 && in1
_v_add_co_u32 v76, vcc, v66, v72                   // addrVgpr = D + index*bytes (lo)
_v_addc_co_u32 v77, vcc, v67, v73, vcc             // addrVgpr = D + index*bytes (hi)
/* (d1,vc1,d0,vc0)=(6,0,0,1) */
_v_add_co_u32 v70, vcc, v64, 1                     // coord0.1: coord0 += d0*sg0*VW + vc0
GLOBAL_OFFSET_D 80, 70, 65, sgprWorkGroup2, 72
v_mov_b32 v72, v80                                 // temp store offset 0
v_mov_b32 v73, v81                                 // temp store offset 1
v_cmp_lt_u32 s[38:39], v70, s[sgprSizesFree+0]     // coord0 < size0
v_cmp_lt_u32 s[40:41], v65, s[sgprSizesFree+1]     // coord1 < size1
s_and_b64 s[44:45], s[38:39], s[40:41]             // in0 && in1
_v_add_co_u32 v80, vcc, v66, v72                   // addrVgpr = D + index*bytes (lo)
_v_addc_co_u32 v81, vcc, v67, v73, vcc             // addrVgpr = D + index*bytes (hi)
/* (d1,vc1,d0,vc0)=(7,0,0,0) */
_v_add_co_u32 v65, vcc, v65, 4                     // coord1.1: coord1Vgpr += d1*sg1*VW + vc1
GLOBAL_OFFSET_D 84, 64, 65, sgprWorkGroup2, 72
v_mov_b32 v72, v84                                 // temp store offset 0
v_mov_b32 v73, v85                                 // temp store offset 1
v_cmp_lt_u32 s[38:39], v64, s[sgprSizesFree+0]     // coord0 < size0
v_cmp_lt_u32 s[40:41], v65, s[sgprSizesFree+1]     // coord1 < size1
s_and_b64 s[46:47], s[38:39], s[40:41]             // in0 && in1
_v_add_co_u32 v84, vcc, v66, v72                   // addrVgpr = D + index*bytes (lo)
_v_addc_co_u32 v85, vcc, v67, v73, vcc             // addrVgpr = D + index*bytes (hi)
/* (d1,vc1,d0,vc0)=(7,0,0,1) */
_v_add_co_u32 v70, vcc, v64, 1                     // coord0.1: coord0 += d0*sg0*VW + vc0
GLOBAL_OFFSET_D 88, 70, 65, sgprWorkGroup2, 72
v_mov_b32 v72, v88                                 // temp store offset 0
v_mov_b32 v73, v89                                 // temp store offset 1
v_cmp_lt_u32 s[38:39], v70, s[sgprSizesFree+0]     // coord0 < size0
v_cmp_lt_u32 s[40:41], v65, s[sgprSizesFree+1]     // coord1 < size1
s_and_b64 s[48:49], s[38:39], s[40:41]             // in0 && in1
_v_add_co_u32 v88, vcc, v66, v72                   // addrVgpr = D + index*bytes (lo)
_v_addc_co_u32 v89, vcc, v67, v73, vcc             // addrVgpr = D + index*bytes (hi)

/* rC *= alpha batchElements=[(6, 0, 0, 0), (6, 0, 0, 1), (7, 0, 0, 0), (7, 0, 0, 1)] */
v_mul_f64 v[vgprValuC+78:vgprValuC+78+1], s[sgprAlpha:sgprAlpha+1], v[vgprValuC+20:vgprValuC+20+1] // Multiply MI out reg with alpha
v_mul_f64 v[vgprValuC+82:vgprValuC+82+1], s[sgprAlpha:sgprAlpha+1], v[vgprValuC+28:vgprValuC+28+1] // Multiply MI out reg with alpha
	;; [unrolled: 1-line block ×4, first 2 shown]

/* apply mask, calc new C and issue writes */
s_mov_b64 exec, s[42:43]                           // sgprs -> exec
_global_store_b64 v[76:77], v[78:79], off,  sc0 sc1 // store D
s_mov_b64 exec, s[44:45]                           // sgprs -> exec
_global_store_b64 v[80:81], v[82:83], off,  sc0 sc1 // store D
	;; [unrolled: 2-line block ×4, first 2 shown]
s_mov_b64 exec, -1                                 // full mask -> exec
s_nop 0                                            // 1 wait state required when next inst writes vgprs held by previous dwordx4 store inst
/* optSingleColVgpr=0 optSharedColVgpr=0 optSGPRUsage=None optSrdIncForRow=0 */
s_sleep 7 // optimization: sync and wait
s_barrier

/******************************************/
/* Global Write Alpha Edge Batch #4 (d1,d0,vc1,vc0) = */
/*    (8,0,0,0:vw1); (8,0,0,1:vw1); (9,0,0,0:vw1); (9,0,0,1:vw1) */
/******************************************/

/* calc coords, apply mask, and issue loads (if necessary) */
/* (d1,vc1,d0,vc0)=(8,0,0,0) */
_v_add_co_u32 v65, vcc, v65, 4                     // coord1.1: coord1Vgpr += d1*sg1*VW + vc1
GLOBAL_OFFSET_D 76, 64, 65, sgprWorkGroup2, 72
v_mov_b32 v72, v76                                 // temp store offset 0
v_mov_b32 v73, v77                                 // temp store offset 1
v_cmp_lt_u32 s[38:39], v64, s[sgprSizesFree+0]     // coord0 < size0
v_cmp_lt_u32 s[40:41], v65, s[sgprSizesFree+1]     // coord1 < size1
s_and_b64 s[42:43], s[38:39], s[40:41]             // in0 && in1
_v_add_co_u32 v76, vcc, v66, v72                   // addrVgpr = D + index*bytes (lo)
_v_addc_co_u32 v77, vcc, v67, v73, vcc             // addrVgpr = D + index*bytes (hi)
/* (d1,vc1,d0,vc0)=(8,0,0,1) */
_v_add_co_u32 v70, vcc, v64, 1                     // coord0.1: coord0 += d0*sg0*VW + vc0
GLOBAL_OFFSET_D 80, 70, 65, sgprWorkGroup2, 72
v_mov_b32 v72, v80                                 // temp store offset 0
v_mov_b32 v73, v81                                 // temp store offset 1
v_cmp_lt_u32 s[38:39], v70, s[sgprSizesFree+0]     // coord0 < size0
v_cmp_lt_u32 s[40:41], v65, s[sgprSizesFree+1]     // coord1 < size1
s_and_b64 s[44:45], s[38:39], s[40:41]             // in0 && in1
_v_add_co_u32 v80, vcc, v66, v72                   // addrVgpr = D + index*bytes (lo)
_v_addc_co_u32 v81, vcc, v67, v73, vcc             // addrVgpr = D + index*bytes (hi)
/* (d1,vc1,d0,vc0)=(9,0,0,0) */
_v_add_co_u32 v65, vcc, v65, 4                     // coord1.1: coord1Vgpr += d1*sg1*VW + vc1
GLOBAL_OFFSET_D 84, 64, 65, sgprWorkGroup2, 72
v_mov_b32 v72, v84                                 // temp store offset 0
v_mov_b32 v73, v85                                 // temp store offset 1
v_cmp_lt_u32 s[38:39], v64, s[sgprSizesFree+0]     // coord0 < size0
v_cmp_lt_u32 s[40:41], v65, s[sgprSizesFree+1]     // coord1 < size1
s_and_b64 s[46:47], s[38:39], s[40:41]             // in0 && in1
_v_add_co_u32 v84, vcc, v66, v72                   // addrVgpr = D + index*bytes (lo)
_v_addc_co_u32 v85, vcc, v67, v73, vcc             // addrVgpr = D + index*bytes (hi)
/* (d1,vc1,d0,vc0)=(9,0,0,1) */
_v_add_co_u32 v70, vcc, v64, 1                     // coord0.1: coord0 += d0*sg0*VW + vc0
GLOBAL_OFFSET_D 88, 70, 65, sgprWorkGroup2, 72
v_mov_b32 v72, v88                                 // temp store offset 0
v_mov_b32 v73, v89                                 // temp store offset 1
v_cmp_lt_u32 s[38:39], v70, s[sgprSizesFree+0]     // coord0 < size0
v_cmp_lt_u32 s[40:41], v65, s[sgprSizesFree+1]     // coord1 < size1
s_and_b64 s[48:49], s[38:39], s[40:41]             // in0 && in1
_v_add_co_u32 v88, vcc, v66, v72                   // addrVgpr = D + index*bytes (lo)
_v_addc_co_u32 v89, vcc, v67, v73, vcc             // addrVgpr = D + index*bytes (hi)

/* rC *= alpha batchElements=[(8, 0, 0, 0), (8, 0, 0, 1), (9, 0, 0, 0), (9, 0, 0, 1)] */
v_mul_f64 v[vgprValuC+78:vgprValuC+78+1], s[sgprAlpha:sgprAlpha+1], v[vgprValuC+32:vgprValuC+32+1] // Multiply MI out reg with alpha
v_mul_f64 v[vgprValuC+82:vgprValuC+82+1], s[sgprAlpha:sgprAlpha+1], v[vgprValuC+40:vgprValuC+40+1] // Multiply MI out reg with alpha
v_mul_f64 v[vgprValuC+86:vgprValuC+86+1], s[sgprAlpha:sgprAlpha+1], v[vgprValuC+34:vgprValuC+34+1] // Multiply MI out reg with alpha
v_mul_f64 v[vgprValuC+90:vgprValuC+90+1], s[sgprAlpha:sgprAlpha+1], v[vgprValuC+42:vgprValuC+42+1] // Multiply MI out reg with alpha

/* apply mask, calc new C and issue writes */
s_mov_b64 exec, s[42:43]                           // sgprs -> exec
_global_store_b64 v[76:77], v[78:79], off,  sc0 sc1 // store D
s_mov_b64 exec, s[44:45]                           // sgprs -> exec
_global_store_b64 v[80:81], v[82:83], off,  sc0 sc1 // store D
	;; [unrolled: 2-line block ×4, first 2 shown]
s_mov_b64 exec, -1                                 // full mask -> exec
s_nop 0                                            // 1 wait state required when next inst writes vgprs held by previous dwordx4 store inst
/* optSingleColVgpr=0 optSharedColVgpr=0 optSGPRUsage=None optSrdIncForRow=0 */
s_sleep 7 // optimization: sync and wait
s_barrier

/******************************************/
/* Global Write Alpha Edge Batch #5 (d1,d0,vc1,vc0) = */
/*    (10,0,0,0:vw1); (10,0,0,1:vw1); (11,0,0,0:vw1); (11,0,0,1:vw1) */
/******************************************/

/* calc coords, apply mask, and issue loads (if necessary) */
/* (d1,vc1,d0,vc0)=(10,0,0,0) */
_v_add_co_u32 v65, vcc, v65, 4                     // coord1.1: coord1Vgpr += d1*sg1*VW + vc1
GLOBAL_OFFSET_D 76, 64, 65, sgprWorkGroup2, 72
v_mov_b32 v72, v76                                 // temp store offset 0
v_mov_b32 v73, v77                                 // temp store offset 1
v_cmp_lt_u32 s[38:39], v64, s[sgprSizesFree+0]     // coord0 < size0
v_cmp_lt_u32 s[40:41], v65, s[sgprSizesFree+1]     // coord1 < size1
s_and_b64 s[42:43], s[38:39], s[40:41]             // in0 && in1
_v_add_co_u32 v76, vcc, v66, v72                   // addrVgpr = D + index*bytes (lo)
_v_addc_co_u32 v77, vcc, v67, v73, vcc             // addrVgpr = D + index*bytes (hi)
/* (d1,vc1,d0,vc0)=(10,0,0,1) */
_v_add_co_u32 v70, vcc, v64, 1                     // coord0.1: coord0 += d0*sg0*VW + vc0
GLOBAL_OFFSET_D 80, 70, 65, sgprWorkGroup2, 72
v_mov_b32 v72, v80                                 // temp store offset 0
v_mov_b32 v73, v81                                 // temp store offset 1
v_cmp_lt_u32 s[38:39], v70, s[sgprSizesFree+0]     // coord0 < size0
v_cmp_lt_u32 s[40:41], v65, s[sgprSizesFree+1]     // coord1 < size1
s_and_b64 s[44:45], s[38:39], s[40:41]             // in0 && in1
_v_add_co_u32 v80, vcc, v66, v72                   // addrVgpr = D + index*bytes (lo)
_v_addc_co_u32 v81, vcc, v67, v73, vcc             // addrVgpr = D + index*bytes (hi)
/* (d1,vc1,d0,vc0)=(11,0,0,0) */
_v_add_co_u32 v65, vcc, v65, 4                     // coord1.1: coord1Vgpr += d1*sg1*VW + vc1
GLOBAL_OFFSET_D 84, 64, 65, sgprWorkGroup2, 72
v_mov_b32 v72, v84                                 // temp store offset 0
v_mov_b32 v73, v85                                 // temp store offset 1
v_cmp_lt_u32 s[38:39], v64, s[sgprSizesFree+0]     // coord0 < size0
v_cmp_lt_u32 s[40:41], v65, s[sgprSizesFree+1]     // coord1 < size1
s_and_b64 s[46:47], s[38:39], s[40:41]             // in0 && in1
_v_add_co_u32 v84, vcc, v66, v72                   // addrVgpr = D + index*bytes (lo)
_v_addc_co_u32 v85, vcc, v67, v73, vcc             // addrVgpr = D + index*bytes (hi)
/* (d1,vc1,d0,vc0)=(11,0,0,1) */
_v_add_co_u32 v70, vcc, v64, 1                     // coord0.1: coord0 += d0*sg0*VW + vc0
GLOBAL_OFFSET_D 88, 70, 65, sgprWorkGroup2, 72
v_mov_b32 v72, v88                                 // temp store offset 0
v_mov_b32 v73, v89                                 // temp store offset 1
v_cmp_lt_u32 s[38:39], v70, s[sgprSizesFree+0]     // coord0 < size0
v_cmp_lt_u32 s[40:41], v65, s[sgprSizesFree+1]     // coord1 < size1
s_and_b64 s[48:49], s[38:39], s[40:41]             // in0 && in1
_v_add_co_u32 v88, vcc, v66, v72                   // addrVgpr = D + index*bytes (lo)
_v_addc_co_u32 v89, vcc, v67, v73, vcc             // addrVgpr = D + index*bytes (hi)

/* rC *= alpha batchElements=[(10, 0, 0, 0), (10, 0, 0, 1), (11, 0, 0, 0), (11, 0, 0, 1)] */
v_mul_f64 v[vgprValuC+78:vgprValuC+78+1], s[sgprAlpha:sgprAlpha+1], v[vgprValuC+36:vgprValuC+36+1] // Multiply MI out reg with alpha
v_mul_f64 v[vgprValuC+82:vgprValuC+82+1], s[sgprAlpha:sgprAlpha+1], v[vgprValuC+44:vgprValuC+44+1] // Multiply MI out reg with alpha
	;; [unrolled: 1-line block ×4, first 2 shown]

/* apply mask, calc new C and issue writes */
s_mov_b64 exec, s[42:43]                           // sgprs -> exec
_global_store_b64 v[76:77], v[78:79], off,  sc0 sc1 // store D
s_mov_b64 exec, s[44:45]                           // sgprs -> exec
_global_store_b64 v[80:81], v[82:83], off,  sc0 sc1 // store D
	;; [unrolled: 2-line block ×4, first 2 shown]
s_mov_b64 exec, -1                                 // full mask -> exec
s_nop 0                                            // 1 wait state required when next inst writes vgprs held by previous dwordx4 store inst
/* optSingleColVgpr=0 optSharedColVgpr=0 optSGPRUsage=None optSrdIncForRow=0 */
s_sleep 7 // optimization: sync and wait
s_barrier

/******************************************/
/* Global Write Alpha Edge Batch #6 (d1,d0,vc1,vc0) = */
/*    (12,0,0,0:vw1); (12,0,0,1:vw1); (13,0,0,0:vw1); (13,0,0,1:vw1) */
/******************************************/

/* calc coords, apply mask, and issue loads (if necessary) */
/* (d1,vc1,d0,vc0)=(12,0,0,0) */
_v_add_co_u32 v65, vcc, v65, 4                     // coord1.1: coord1Vgpr += d1*sg1*VW + vc1
GLOBAL_OFFSET_D 76, 64, 65, sgprWorkGroup2, 72
v_mov_b32 v72, v76                                 // temp store offset 0
v_mov_b32 v73, v77                                 // temp store offset 1
v_cmp_lt_u32 s[38:39], v64, s[sgprSizesFree+0]     // coord0 < size0
v_cmp_lt_u32 s[40:41], v65, s[sgprSizesFree+1]     // coord1 < size1
s_and_b64 s[42:43], s[38:39], s[40:41]             // in0 && in1
_v_add_co_u32 v76, vcc, v66, v72                   // addrVgpr = D + index*bytes (lo)
_v_addc_co_u32 v77, vcc, v67, v73, vcc             // addrVgpr = D + index*bytes (hi)
/* (d1,vc1,d0,vc0)=(12,0,0,1) */
_v_add_co_u32 v70, vcc, v64, 1                     // coord0.1: coord0 += d0*sg0*VW + vc0
GLOBAL_OFFSET_D 80, 70, 65, sgprWorkGroup2, 72
v_mov_b32 v72, v80                                 // temp store offset 0
v_mov_b32 v73, v81                                 // temp store offset 1
v_cmp_lt_u32 s[38:39], v70, s[sgprSizesFree+0]     // coord0 < size0
v_cmp_lt_u32 s[40:41], v65, s[sgprSizesFree+1]     // coord1 < size1
s_and_b64 s[44:45], s[38:39], s[40:41]             // in0 && in1
_v_add_co_u32 v80, vcc, v66, v72                   // addrVgpr = D + index*bytes (lo)
_v_addc_co_u32 v81, vcc, v67, v73, vcc             // addrVgpr = D + index*bytes (hi)
/* (d1,vc1,d0,vc0)=(13,0,0,0) */
_v_add_co_u32 v65, vcc, v65, 4                     // coord1.1: coord1Vgpr += d1*sg1*VW + vc1
GLOBAL_OFFSET_D 84, 64, 65, sgprWorkGroup2, 72
v_mov_b32 v72, v84                                 // temp store offset 0
v_mov_b32 v73, v85                                 // temp store offset 1
v_cmp_lt_u32 s[38:39], v64, s[sgprSizesFree+0]     // coord0 < size0
v_cmp_lt_u32 s[40:41], v65, s[sgprSizesFree+1]     // coord1 < size1
s_and_b64 s[46:47], s[38:39], s[40:41]             // in0 && in1
_v_add_co_u32 v84, vcc, v66, v72                   // addrVgpr = D + index*bytes (lo)
_v_addc_co_u32 v85, vcc, v67, v73, vcc             // addrVgpr = D + index*bytes (hi)
/* (d1,vc1,d0,vc0)=(13,0,0,1) */
_v_add_co_u32 v70, vcc, v64, 1                     // coord0.1: coord0 += d0*sg0*VW + vc0
GLOBAL_OFFSET_D 88, 70, 65, sgprWorkGroup2, 72
v_mov_b32 v72, v88                                 // temp store offset 0
v_mov_b32 v73, v89                                 // temp store offset 1
v_cmp_lt_u32 s[38:39], v70, s[sgprSizesFree+0]     // coord0 < size0
v_cmp_lt_u32 s[40:41], v65, s[sgprSizesFree+1]     // coord1 < size1
s_and_b64 s[48:49], s[38:39], s[40:41]             // in0 && in1
_v_add_co_u32 v88, vcc, v66, v72                   // addrVgpr = D + index*bytes (lo)
_v_addc_co_u32 v89, vcc, v67, v73, vcc             // addrVgpr = D + index*bytes (hi)

/* rC *= alpha batchElements=[(12, 0, 0, 0), (12, 0, 0, 1), (13, 0, 0, 0), (13, 0, 0, 1)] */
v_mul_f64 v[vgprValuC+78:vgprValuC+78+1], s[sgprAlpha:sgprAlpha+1], v[vgprValuC+48:vgprValuC+48+1] // Multiply MI out reg with alpha
v_mul_f64 v[vgprValuC+82:vgprValuC+82+1], s[sgprAlpha:sgprAlpha+1], v[vgprValuC+56:vgprValuC+56+1] // Multiply MI out reg with alpha
v_mul_f64 v[vgprValuC+86:vgprValuC+86+1], s[sgprAlpha:sgprAlpha+1], v[vgprValuC+50:vgprValuC+50+1] // Multiply MI out reg with alpha
v_mul_f64 v[vgprValuC+90:vgprValuC+90+1], s[sgprAlpha:sgprAlpha+1], v[vgprValuC+58:vgprValuC+58+1] // Multiply MI out reg with alpha

/* apply mask, calc new C and issue writes */
s_mov_b64 exec, s[42:43]                           // sgprs -> exec
_global_store_b64 v[76:77], v[78:79], off,  sc0 sc1 // store D
s_mov_b64 exec, s[44:45]                           // sgprs -> exec
_global_store_b64 v[80:81], v[82:83], off,  sc0 sc1 // store D
	;; [unrolled: 2-line block ×4, first 2 shown]
s_mov_b64 exec, -1                                 // full mask -> exec
s_nop 0                                            // 1 wait state required when next inst writes vgprs held by previous dwordx4 store inst
/* optSingleColVgpr=0 optSharedColVgpr=0 optSGPRUsage=None optSrdIncForRow=0 */
s_sleep 7 // optimization: sync and wait
s_barrier

/******************************************/
/* Global Write Alpha Edge Batch #7 (d1,d0,vc1,vc0) = */
/*    (14,0,0,0:vw1); (14,0,0,1:vw1); (15,0,0,0:vw1); (15,0,0,1:vw1) */
/******************************************/

/* calc coords, apply mask, and issue loads (if necessary) */
/* (d1,vc1,d0,vc0)=(14,0,0,0) */
_v_add_co_u32 v65, vcc, v65, 4                     // coord1.1: coord1Vgpr += d1*sg1*VW + vc1
GLOBAL_OFFSET_D 76, 64, 65, sgprWorkGroup2, 72
v_mov_b32 v72, v76                                 // temp store offset 0
v_mov_b32 v73, v77                                 // temp store offset 1
v_cmp_lt_u32 s[38:39], v64, s[sgprSizesFree+0]     // coord0 < size0
v_cmp_lt_u32 s[40:41], v65, s[sgprSizesFree+1]     // coord1 < size1
s_and_b64 s[42:43], s[38:39], s[40:41]             // in0 && in1
_v_add_co_u32 v76, vcc, v66, v72                   // addrVgpr = D + index*bytes (lo)
_v_addc_co_u32 v77, vcc, v67, v73, vcc             // addrVgpr = D + index*bytes (hi)
/* (d1,vc1,d0,vc0)=(14,0,0,1) */
_v_add_co_u32 v70, vcc, v64, 1                     // coord0.1: coord0 += d0*sg0*VW + vc0
GLOBAL_OFFSET_D 80, 70, 65, sgprWorkGroup2, 72
v_mov_b32 v72, v80                                 // temp store offset 0
v_mov_b32 v73, v81                                 // temp store offset 1
v_cmp_lt_u32 s[38:39], v70, s[sgprSizesFree+0]     // coord0 < size0
v_cmp_lt_u32 s[40:41], v65, s[sgprSizesFree+1]     // coord1 < size1
s_and_b64 s[44:45], s[38:39], s[40:41]             // in0 && in1
_v_add_co_u32 v80, vcc, v66, v72                   // addrVgpr = D + index*bytes (lo)
_v_addc_co_u32 v81, vcc, v67, v73, vcc             // addrVgpr = D + index*bytes (hi)
/* (d1,vc1,d0,vc0)=(15,0,0,0) */
_v_add_co_u32 v65, vcc, v65, 4                     // coord1.1: coord1Vgpr += d1*sg1*VW + vc1
GLOBAL_OFFSET_D 84, 64, 65, sgprWorkGroup2, 72
v_mov_b32 v72, v84                                 // temp store offset 0
v_mov_b32 v73, v85                                 // temp store offset 1
v_cmp_lt_u32 s[38:39], v64, s[sgprSizesFree+0]     // coord0 < size0
v_cmp_lt_u32 s[40:41], v65, s[sgprSizesFree+1]     // coord1 < size1
s_and_b64 s[46:47], s[38:39], s[40:41]             // in0 && in1
_v_add_co_u32 v84, vcc, v66, v72                   // addrVgpr = D + index*bytes (lo)
_v_addc_co_u32 v85, vcc, v67, v73, vcc             // addrVgpr = D + index*bytes (hi)
/* (d1,vc1,d0,vc0)=(15,0,0,1) */
_v_add_co_u32 v70, vcc, v64, 1                     // coord0.1: coord0 += d0*sg0*VW + vc0
GLOBAL_OFFSET_D 88, 70, 65, sgprWorkGroup2, 72
v_mov_b32 v72, v88                                 // temp store offset 0
v_mov_b32 v73, v89                                 // temp store offset 1
v_cmp_lt_u32 s[38:39], v70, s[sgprSizesFree+0]     // coord0 < size0
v_cmp_lt_u32 s[40:41], v65, s[sgprSizesFree+1]     // coord1 < size1
s_and_b64 s[48:49], s[38:39], s[40:41]             // in0 && in1
_v_add_co_u32 v88, vcc, v66, v72                   // addrVgpr = D + index*bytes (lo)
_v_addc_co_u32 v89, vcc, v67, v73, vcc             // addrVgpr = D + index*bytes (hi)

/* rC *= alpha batchElements=[(14, 0, 0, 0), (14, 0, 0, 1), (15, 0, 0, 0), (15, 0, 0, 1)] */
v_mul_f64 v[vgprValuC+78:vgprValuC+78+1], s[sgprAlpha:sgprAlpha+1], v[vgprValuC+52:vgprValuC+52+1] // Multiply MI out reg with alpha
v_mul_f64 v[vgprValuC+82:vgprValuC+82+1], s[sgprAlpha:sgprAlpha+1], v[vgprValuC+60:vgprValuC+60+1] // Multiply MI out reg with alpha
	;; [unrolled: 1-line block ×4, first 2 shown]

/* apply mask, calc new C and issue writes */
s_mov_b64 exec, s[42:43]                           // sgprs -> exec
_global_store_b64 v[76:77], v[78:79], off,  sc0 sc1 // store D
s_mov_b64 exec, s[44:45]                           // sgprs -> exec
_global_store_b64 v[80:81], v[82:83], off,  sc0 sc1 // store D
	;; [unrolled: 2-line block ×4, first 2 shown]
s_mov_b64 exec, -1                                 // full mask -> exec
s_nop 0                                            // 1 wait state required when next inst writes vgprs held by previous dwordx4 store inst
s_branch label_GW_End_109                          // jump to end
GW_Beta_110:
s_and_b32 s38, 127, s[sgprSizeI]                   // s38 = s[sgprSizeI] % 128
s_add_u32 s39, -0x1, s[sgprNumWorkGroups0]         // 
s_cmp_ge_u32 s[sgprWorkGroup0], s39                // wg0 >= nwg0-1 ?
s_cselect_b32 s38, s38, 0                          // set rMT0
s_cmpk_gt_u32 s38, 0x0                             // rMT0 > 0
s_cbranch_scc1 GW_B1_E1_108                        // jump if edges required
s_and_b32 s38, 63, s[sgprSizeJ]                    // s38 = s[sgprSizeJ] % 64
s_add_u32 s39, -0x1, s[sgprNumWorkGroups1]         // 
s_cmp_ge_u32 s[sgprWorkGroup1], s39                // wg1 >= nwg1-1
s_cselect_b32 s38, s38, 0                          // set rMT1
s_cmpk_gt_u32 s38, 0x0                             // rMT1 > 0
s_cbranch_scc1 GW_B1_E1_108                        // jump if edges required
GW_B1_E0_105:

/* edge=0, allocate 12 sgpr. perBatchTmpS=4 perBatchMaskS=0 perElementMaskS=2 elementsPerBatch=4 */
/* optSingleColVgpr=0 optSharedColVgpr=0 optSGPRUsage=None optSrdIncForRow=0 */
s_sleep 7 // optimization: sync and wait
s_barrier

/******************************************/
/* Global Write Alpha Beta Batch #0 (d1,d0,vc1,vc0) = */
/*    (0,0,0,0:vw2); (1,0,0,0:vw2); (2,0,0,0:vw2); (3,0,0,0:vw2) */
/******************************************/

/* calc coords, apply mask, and issue loads (if necessary) */

/* rC *= alpha batchElements=[(0, 0, 0, 0), (1, 0, 0, 0), (2, 0, 0, 0), (3, 0, 0, 0)] */
v_mul_f64 v[vgprValuC+84:vgprValuC+84+1], s[sgprAlpha:sgprAlpha+1], v[vgprValuC+0:vgprValuC+0+1] // Multiply MI out reg with alpha
v_mul_f64 v[vgprValuC+86:vgprValuC+86+1], s[sgprAlpha:sgprAlpha+1], v[vgprValuC+8:vgprValuC+8+1] // Multiply MI out reg with alpha
	;; [unrolled: 1-line block ×8, first 2 shown]
/* (d1,vc1,d0,vc0)=(0,0,0,0) */
GLOBAL_OFFSET_C 76, 64, 65, sgprWorkGroup2, 72
v_mov_b32 v72, v76                                 // temp store offset 0
v_mov_b32 v73, v77                                 // temp store offset 1
_v_add_co_u32 v76, vcc, v68, v72                   // addrVgpr = C + index*bytes (lo)
_v_addc_co_u32 v77, vcc, v69, v73, vcc             // addrVgpr = C + index*bytes (hi)
_global_load_b128 v[80:83], v[76:77], off, offset:0,  sc0 sc1 // load C for beta calc
GLOBAL_OFFSET_D 76, 64, 65, sgprWorkGroup2, 72
v_mov_b32 v72, v76                                 // temp store offset 0
v_mov_b32 v73, v77                                 // temp store offset 1
_v_add_co_u32 v76, vcc, v66, v72                   // addrVgpr = D + index*bytes (lo)
_v_addc_co_u32 v77, vcc, v67, v73, vcc             // addrVgpr = D + index*bytes (hi)
/* (d1,vc1,d0,vc0)=(1,0,0,0) */
_v_add_co_u32 v65, vcc, v65, 4                     // coord1.1: coord1Vgpr += d1*sg1*VW + vc1
GLOBAL_OFFSET_C 78, 64, 65, sgprWorkGroup2, 72
v_mov_b32 v72, v78                                 // temp store offset 0
v_mov_b32 v73, v79                                 // temp store offset 1
_v_add_co_u32 v78, vcc, v68, v72                   // addrVgpr = C + index*bytes (lo)
_v_addc_co_u32 v79, vcc, v69, v73, vcc             // addrVgpr = C + index*bytes (hi)
_global_load_b128 v[88:91], v[78:79], off, offset:0,  sc0 sc1 // load C for beta calc
GLOBAL_OFFSET_D 78, 64, 65, sgprWorkGroup2, 72
v_mov_b32 v72, v78                                 // temp store offset 0
v_mov_b32 v73, v79                                 // temp store offset 1
_v_add_co_u32 v78, vcc, v66, v72                   // addrVgpr = D + index*bytes (lo)
_v_addc_co_u32 v79, vcc, v67, v73, vcc             // addrVgpr = D + index*bytes (hi)
/* (d1,vc1,d0,vc0)=(2,0,0,0) */
_v_add_co_u32 v65, vcc, v65, 4                     // coord1.1: coord1Vgpr += d1*sg1*VW + vc1
	;; [unrolled: 13-line block ×3, first 2 shown]
GLOBAL_OFFSET_C 98, 64, 65, sgprWorkGroup2, 72
v_mov_b32 v72, v98                                 // temp store offset 0
v_mov_b32 v73, v99                                 // temp store offset 1
_v_add_co_u32 v98, vcc, v68, v72                   // addrVgpr = C + index*bytes (lo)
_v_addc_co_u32 v99, vcc, v69, v73, vcc             // addrVgpr = C + index*bytes (hi)
_global_load_b128 v[108:111], v[98:99], off, offset:0,  sc0 sc1 // load C for beta calc
GLOBAL_OFFSET_D 98, 64, 65, sgprWorkGroup2, 72
v_mov_b32 v72, v98                                 // temp store offset 0
v_mov_b32 v73, v99                                 // temp store offset 1
_v_add_co_u32 v98, vcc, v66, v72                   // addrVgpr = D + index*bytes (lo)
_v_addc_co_u32 v99, vcc, v67, v73, vcc             // addrVgpr = D + index*bytes (hi)
s_sleep 7 // optimization: sync and wait
s_barrier
s_waitcnt vmcnt(0)                                 // wait C

/* apply mask, calc new C and issue writes */
v_fma_f64 v[vgprValuC+84:vgprValuC+84+1], v[80:81], s[sgprBeta:sgprBeta+1], v[vgprValuC+84:vgprValuC+84+1] // finalSum = sum*alpha + C*beta
v_fma_f64 v[vgprValuC+86:vgprValuC+86+1], v[82:83], s[sgprBeta:sgprBeta+1], v[vgprValuC+86:vgprValuC+86+1] // finalSum = sum*alpha + C*beta
_global_store_b128 v[76:77], v[84:87], off,  sc0 sc1 // store D
v_fma_f64 v[vgprValuC+92:vgprValuC+92+1], v[88:89], s[sgprBeta:sgprBeta+1], v[vgprValuC+92:vgprValuC+92+1] // finalSum = sum*alpha + C*beta
v_fma_f64 v[vgprValuC+94:vgprValuC+94+1], v[90:91], s[sgprBeta:sgprBeta+1], v[vgprValuC+94:vgprValuC+94+1] // finalSum = sum*alpha + C*beta
_global_store_b128 v[78:79], v[92:95], off,  sc0 sc1 // store D
	;; [unrolled: 3-line block ×4, first 2 shown]
s_nop 0                                            // 1 wait state required when next inst writes vgprs held by previous dwordx4 store inst
/* optSingleColVgpr=0 optSharedColVgpr=0 optSGPRUsage=None optSrdIncForRow=0 */
s_sleep 7 // optimization: sync and wait
s_barrier

/******************************************/
/* Global Write Alpha Beta Batch #1 (d1,d0,vc1,vc0) = */
/*    (4,0,0,0:vw2); (5,0,0,0:vw2); (6,0,0,0:vw2); (7,0,0,0:vw2) */
/******************************************/

/* calc coords, apply mask, and issue loads (if necessary) */

/* rC *= alpha batchElements=[(4, 0, 0, 0), (5, 0, 0, 0), (6, 0, 0, 0), (7, 0, 0, 0)] */
v_mul_f64 v[vgprValuC+84:vgprValuC+84+1], s[sgprAlpha:sgprAlpha+1], v[vgprValuC+16:vgprValuC+16+1] // Multiply MI out reg with alpha
v_mul_f64 v[vgprValuC+86:vgprValuC+86+1], s[sgprAlpha:sgprAlpha+1], v[vgprValuC+24:vgprValuC+24+1] // Multiply MI out reg with alpha
	;; [unrolled: 1-line block ×8, first 2 shown]
/* (d1,vc1,d0,vc0)=(4,0,0,0) */
_v_add_co_u32 v65, vcc, v65, 4                     // coord1.1: coord1Vgpr += d1*sg1*VW + vc1
GLOBAL_OFFSET_C 76, 64, 65, sgprWorkGroup2, 72
v_mov_b32 v72, v76                                 // temp store offset 0
v_mov_b32 v73, v77                                 // temp store offset 1
_v_add_co_u32 v76, vcc, v68, v72                   // addrVgpr = C + index*bytes (lo)
_v_addc_co_u32 v77, vcc, v69, v73, vcc             // addrVgpr = C + index*bytes (hi)
_global_load_b128 v[80:83], v[76:77], off, offset:0,  sc0 sc1 // load C for beta calc
GLOBAL_OFFSET_D 76, 64, 65, sgprWorkGroup2, 72
v_mov_b32 v72, v76                                 // temp store offset 0
v_mov_b32 v73, v77                                 // temp store offset 1
_v_add_co_u32 v76, vcc, v66, v72                   // addrVgpr = D + index*bytes (lo)
_v_addc_co_u32 v77, vcc, v67, v73, vcc             // addrVgpr = D + index*bytes (hi)
/* (d1,vc1,d0,vc0)=(5,0,0,0) */
_v_add_co_u32 v65, vcc, v65, 4                     // coord1.1: coord1Vgpr += d1*sg1*VW + vc1
GLOBAL_OFFSET_C 78, 64, 65, sgprWorkGroup2, 72
v_mov_b32 v72, v78                                 // temp store offset 0
v_mov_b32 v73, v79                                 // temp store offset 1
_v_add_co_u32 v78, vcc, v68, v72                   // addrVgpr = C + index*bytes (lo)
_v_addc_co_u32 v79, vcc, v69, v73, vcc             // addrVgpr = C + index*bytes (hi)
_global_load_b128 v[88:91], v[78:79], off, offset:0,  sc0 sc1 // load C for beta calc
GLOBAL_OFFSET_D 78, 64, 65, sgprWorkGroup2, 72
v_mov_b32 v72, v78                                 // temp store offset 0
v_mov_b32 v73, v79                                 // temp store offset 1
_v_add_co_u32 v78, vcc, v66, v72                   // addrVgpr = D + index*bytes (lo)
_v_addc_co_u32 v79, vcc, v67, v73, vcc             // addrVgpr = D + index*bytes (hi)
	;; [unrolled: 13-line block ×4, first 2 shown]
s_sleep 7 // optimization: sync and wait
s_barrier
s_waitcnt vmcnt(0)                                 // wait C

/* apply mask, calc new C and issue writes */
v_fma_f64 v[vgprValuC+84:vgprValuC+84+1], v[80:81], s[sgprBeta:sgprBeta+1], v[vgprValuC+84:vgprValuC+84+1] // finalSum = sum*alpha + C*beta
v_fma_f64 v[vgprValuC+86:vgprValuC+86+1], v[82:83], s[sgprBeta:sgprBeta+1], v[vgprValuC+86:vgprValuC+86+1] // finalSum = sum*alpha + C*beta
_global_store_b128 v[76:77], v[84:87], off,  sc0 sc1 // store D
v_fma_f64 v[vgprValuC+92:vgprValuC+92+1], v[88:89], s[sgprBeta:sgprBeta+1], v[vgprValuC+92:vgprValuC+92+1] // finalSum = sum*alpha + C*beta
v_fma_f64 v[vgprValuC+94:vgprValuC+94+1], v[90:91], s[sgprBeta:sgprBeta+1], v[vgprValuC+94:vgprValuC+94+1] // finalSum = sum*alpha + C*beta
_global_store_b128 v[78:79], v[92:95], off,  sc0 sc1 // store D
	;; [unrolled: 3-line block ×4, first 2 shown]
s_nop 0                                            // 1 wait state required when next inst writes vgprs held by previous dwordx4 store inst
/* optSingleColVgpr=0 optSharedColVgpr=0 optSGPRUsage=None optSrdIncForRow=0 */
s_sleep 7 // optimization: sync and wait
s_barrier

/******************************************/
/* Global Write Alpha Beta Batch #2 (d1,d0,vc1,vc0) = */
/*    (8,0,0,0:vw2); (9,0,0,0:vw2); (10,0,0,0:vw2); (11,0,0,0:vw2) */
/******************************************/

/* calc coords, apply mask, and issue loads (if necessary) */

/* rC *= alpha batchElements=[(8, 0, 0, 0), (9, 0, 0, 0), (10, 0, 0, 0), (11, 0, 0, 0)] */
v_mul_f64 v[vgprValuC+84:vgprValuC+84+1], s[sgprAlpha:sgprAlpha+1], v[vgprValuC+32:vgprValuC+32+1] // Multiply MI out reg with alpha
v_mul_f64 v[vgprValuC+86:vgprValuC+86+1], s[sgprAlpha:sgprAlpha+1], v[vgprValuC+40:vgprValuC+40+1] // Multiply MI out reg with alpha
	;; [unrolled: 1-line block ×8, first 2 shown]
/* (d1,vc1,d0,vc0)=(8,0,0,0) */
_v_add_co_u32 v65, vcc, v65, 4                     // coord1.1: coord1Vgpr += d1*sg1*VW + vc1
GLOBAL_OFFSET_C 76, 64, 65, sgprWorkGroup2, 72
v_mov_b32 v72, v76                                 // temp store offset 0
v_mov_b32 v73, v77                                 // temp store offset 1
_v_add_co_u32 v76, vcc, v68, v72                   // addrVgpr = C + index*bytes (lo)
_v_addc_co_u32 v77, vcc, v69, v73, vcc             // addrVgpr = C + index*bytes (hi)
_global_load_b128 v[80:83], v[76:77], off, offset:0,  sc0 sc1 // load C for beta calc
GLOBAL_OFFSET_D 76, 64, 65, sgprWorkGroup2, 72
v_mov_b32 v72, v76                                 // temp store offset 0
v_mov_b32 v73, v77                                 // temp store offset 1
_v_add_co_u32 v76, vcc, v66, v72                   // addrVgpr = D + index*bytes (lo)
_v_addc_co_u32 v77, vcc, v67, v73, vcc             // addrVgpr = D + index*bytes (hi)
/* (d1,vc1,d0,vc0)=(9,0,0,0) */
_v_add_co_u32 v65, vcc, v65, 4                     // coord1.1: coord1Vgpr += d1*sg1*VW + vc1
GLOBAL_OFFSET_C 78, 64, 65, sgprWorkGroup2, 72
v_mov_b32 v72, v78                                 // temp store offset 0
v_mov_b32 v73, v79                                 // temp store offset 1
_v_add_co_u32 v78, vcc, v68, v72                   // addrVgpr = C + index*bytes (lo)
_v_addc_co_u32 v79, vcc, v69, v73, vcc             // addrVgpr = C + index*bytes (hi)
_global_load_b128 v[88:91], v[78:79], off, offset:0,  sc0 sc1 // load C for beta calc
GLOBAL_OFFSET_D 78, 64, 65, sgprWorkGroup2, 72
v_mov_b32 v72, v78                                 // temp store offset 0
v_mov_b32 v73, v79                                 // temp store offset 1
_v_add_co_u32 v78, vcc, v66, v72                   // addrVgpr = D + index*bytes (lo)
_v_addc_co_u32 v79, vcc, v67, v73, vcc             // addrVgpr = D + index*bytes (hi)
	;; [unrolled: 13-line block ×4, first 2 shown]
s_sleep 7 // optimization: sync and wait
s_barrier
s_waitcnt vmcnt(0)                                 // wait C

/* apply mask, calc new C and issue writes */
v_fma_f64 v[vgprValuC+84:vgprValuC+84+1], v[80:81], s[sgprBeta:sgprBeta+1], v[vgprValuC+84:vgprValuC+84+1] // finalSum = sum*alpha + C*beta
v_fma_f64 v[vgprValuC+86:vgprValuC+86+1], v[82:83], s[sgprBeta:sgprBeta+1], v[vgprValuC+86:vgprValuC+86+1] // finalSum = sum*alpha + C*beta
_global_store_b128 v[76:77], v[84:87], off,  sc0 sc1 // store D
v_fma_f64 v[vgprValuC+92:vgprValuC+92+1], v[88:89], s[sgprBeta:sgprBeta+1], v[vgprValuC+92:vgprValuC+92+1] // finalSum = sum*alpha + C*beta
v_fma_f64 v[vgprValuC+94:vgprValuC+94+1], v[90:91], s[sgprBeta:sgprBeta+1], v[vgprValuC+94:vgprValuC+94+1] // finalSum = sum*alpha + C*beta
_global_store_b128 v[78:79], v[92:95], off,  sc0 sc1 // store D
	;; [unrolled: 3-line block ×4, first 2 shown]
s_nop 0                                            // 1 wait state required when next inst writes vgprs held by previous dwordx4 store inst
/* optSingleColVgpr=0 optSharedColVgpr=0 optSGPRUsage=None optSrdIncForRow=0 */
s_sleep 7 // optimization: sync and wait
s_barrier

/******************************************/
/* Global Write Alpha Beta Batch #3 (d1,d0,vc1,vc0) = */
/*    (12,0,0,0:vw2); (13,0,0,0:vw2); (14,0,0,0:vw2); (15,0,0,0:vw2) */
/******************************************/

/* calc coords, apply mask, and issue loads (if necessary) */

/* rC *= alpha batchElements=[(12, 0, 0, 0), (13, 0, 0, 0), (14, 0, 0, 0), (15, 0, 0, 0)] */
v_mul_f64 v[vgprValuC+84:vgprValuC+84+1], s[sgprAlpha:sgprAlpha+1], v[vgprValuC+48:vgprValuC+48+1] // Multiply MI out reg with alpha
v_mul_f64 v[vgprValuC+86:vgprValuC+86+1], s[sgprAlpha:sgprAlpha+1], v[vgprValuC+56:vgprValuC+56+1] // Multiply MI out reg with alpha
	;; [unrolled: 1-line block ×8, first 2 shown]
/* (d1,vc1,d0,vc0)=(12,0,0,0) */
_v_add_co_u32 v65, vcc, v65, 4                     // coord1.1: coord1Vgpr += d1*sg1*VW + vc1
GLOBAL_OFFSET_C 76, 64, 65, sgprWorkGroup2, 72
v_mov_b32 v72, v76                                 // temp store offset 0
v_mov_b32 v73, v77                                 // temp store offset 1
_v_add_co_u32 v76, vcc, v68, v72                   // addrVgpr = C + index*bytes (lo)
_v_addc_co_u32 v77, vcc, v69, v73, vcc             // addrVgpr = C + index*bytes (hi)
_global_load_b128 v[80:83], v[76:77], off, offset:0,  sc0 sc1 // load C for beta calc
GLOBAL_OFFSET_D 76, 64, 65, sgprWorkGroup2, 72
v_mov_b32 v72, v76                                 // temp store offset 0
v_mov_b32 v73, v77                                 // temp store offset 1
_v_add_co_u32 v76, vcc, v66, v72                   // addrVgpr = D + index*bytes (lo)
_v_addc_co_u32 v77, vcc, v67, v73, vcc             // addrVgpr = D + index*bytes (hi)
/* (d1,vc1,d0,vc0)=(13,0,0,0) */
_v_add_co_u32 v65, vcc, v65, 4                     // coord1.1: coord1Vgpr += d1*sg1*VW + vc1
GLOBAL_OFFSET_C 78, 64, 65, sgprWorkGroup2, 72
v_mov_b32 v72, v78                                 // temp store offset 0
v_mov_b32 v73, v79                                 // temp store offset 1
_v_add_co_u32 v78, vcc, v68, v72                   // addrVgpr = C + index*bytes (lo)
_v_addc_co_u32 v79, vcc, v69, v73, vcc             // addrVgpr = C + index*bytes (hi)
_global_load_b128 v[88:91], v[78:79], off, offset:0,  sc0 sc1 // load C for beta calc
GLOBAL_OFFSET_D 78, 64, 65, sgprWorkGroup2, 72
v_mov_b32 v72, v78                                 // temp store offset 0
v_mov_b32 v73, v79                                 // temp store offset 1
_v_add_co_u32 v78, vcc, v66, v72                   // addrVgpr = D + index*bytes (lo)
_v_addc_co_u32 v79, vcc, v67, v73, vcc             // addrVgpr = D + index*bytes (hi)
	;; [unrolled: 13-line block ×4, first 2 shown]
s_sleep 7 // optimization: sync and wait
s_barrier
s_waitcnt vmcnt(0)                                 // wait C

/* apply mask, calc new C and issue writes */
v_fma_f64 v[vgprValuC+84:vgprValuC+84+1], v[80:81], s[sgprBeta:sgprBeta+1], v[vgprValuC+84:vgprValuC+84+1] // finalSum = sum*alpha + C*beta
v_fma_f64 v[vgprValuC+86:vgprValuC+86+1], v[82:83], s[sgprBeta:sgprBeta+1], v[vgprValuC+86:vgprValuC+86+1] // finalSum = sum*alpha + C*beta
_global_store_b128 v[76:77], v[84:87], off,  sc0 sc1 // store D
v_fma_f64 v[vgprValuC+92:vgprValuC+92+1], v[88:89], s[sgprBeta:sgprBeta+1], v[vgprValuC+92:vgprValuC+92+1] // finalSum = sum*alpha + C*beta
v_fma_f64 v[vgprValuC+94:vgprValuC+94+1], v[90:91], s[sgprBeta:sgprBeta+1], v[vgprValuC+94:vgprValuC+94+1] // finalSum = sum*alpha + C*beta
_global_store_b128 v[78:79], v[92:95], off,  sc0 sc1 // store D
	;; [unrolled: 3-line block ×4, first 2 shown]
s_nop 0                                            // 1 wait state required when next inst writes vgprs held by previous dwordx4 store inst
s_branch label_GW_End_109                          // jump to end
GW_B1_E1_108:

/* edge=1, allocate 12 sgpr. perBatchTmpS=4 perBatchMaskS=0 perElementMaskS=2 elementsPerBatch=4 */
/* optSingleColVgpr=0 optSharedColVgpr=0 optSGPRUsage=None optSrdIncForRow=0 */
s_sleep 7 // optimization: sync and wait
s_barrier

/******************************************/
/* Global Write Alpha Beta Edge Batch #0 (d1,d0,vc1,vc0) = */
/*    (0,0,0,0:vw1); (0,0,0,1:vw1); (1,0,0,0:vw1); (1,0,0,1:vw1) */
/******************************************/

/* calc coords, apply mask, and issue loads (if necessary) */

/* rC *= alpha batchElements=[(0, 0, 0, 0), (0, 0, 0, 1), (1, 0, 0, 0), (1, 0, 0, 1)] */
v_mul_f64 v[vgprValuC+80:vgprValuC+80+1], s[sgprAlpha:sgprAlpha+1], v[vgprValuC+0:vgprValuC+0+1] // Multiply MI out reg with alpha
v_mul_f64 v[vgprValuC+86:vgprValuC+86+1], s[sgprAlpha:sgprAlpha+1], v[vgprValuC+8:vgprValuC+8+1] // Multiply MI out reg with alpha
	;; [unrolled: 1-line block ×4, first 2 shown]
/* (d1,vc1,d0,vc0)=(0,0,0,0) */
GLOBAL_OFFSET_C 76, 64, 65, sgprWorkGroup2, 72
v_mov_b32 v72, v76                                 // temp store offset 0
v_mov_b32 v73, v77                                 // temp store offset 1
v_cmp_lt_u32 s[38:39], v64, s[sgprSizesFree+0]     // coord0 < size0
v_cmp_lt_u32 s[40:41], v65, s[sgprSizesFree+1]     // coord1 < size1
s_and_b64 s[42:43], s[38:39], s[40:41]             // in0 && in1
s_mov_b64 exec, s[42:43]                           // sgprs -> exec
_v_add_co_u32 v76, vcc, v68, v72                   // addrVgpr = C + index*bytes (lo)
_v_addc_co_u32 v77, vcc, v69, v73, vcc             // addrVgpr = C + index*bytes (hi)
_global_load_b64 v[78:79], v[76:77], off, offset:0,  sc0 sc1 // load C for beta calc
GLOBAL_OFFSET_D 76, 64, 65, sgprWorkGroup2, 72
v_mov_b32 v72, v76                                 // temp store offset 0
v_mov_b32 v73, v77                                 // temp store offset 1
v_cmp_lt_u32 s[38:39], v64, s[sgprSizesFree+0]     // coord0 < size0
v_cmp_lt_u32 s[40:41], v65, s[sgprSizesFree+1]     // coord1 < size1
s_and_b64 s[42:43], s[38:39], s[40:41]             // in0 && in1
s_mov_b64 exec, s[42:43]                           // sgprs -> exec
_v_add_co_u32 v76, vcc, v66, v72                   // addrVgpr = D + index*bytes (lo)
_v_addc_co_u32 v77, vcc, v67, v73, vcc             // addrVgpr = D + index*bytes (hi)
s_mov_b64 exec, -1                                 // full mask -1 -> exec
/* (d1,vc1,d0,vc0)=(0,0,0,1) */
_v_add_co_u32 v70, vcc, v64, 1                     // coord0.1: coord0 += d0*sg0*VW + vc0
GLOBAL_OFFSET_C 82, 70, 65, sgprWorkGroup2, 72
v_mov_b32 v72, v82                                 // temp store offset 0
v_mov_b32 v73, v83                                 // temp store offset 1
v_cmp_lt_u32 s[38:39], v70, s[sgprSizesFree+0]     // coord0 < size0
v_cmp_lt_u32 s[40:41], v65, s[sgprSizesFree+1]     // coord1 < size1
s_and_b64 s[44:45], s[38:39], s[40:41]             // in0 && in1
s_mov_b64 exec, s[44:45]                           // sgprs -> exec
_v_add_co_u32 v82, vcc, v68, v72                   // addrVgpr = C + index*bytes (lo)
_v_addc_co_u32 v83, vcc, v69, v73, vcc             // addrVgpr = C + index*bytes (hi)
_global_load_b64 v[84:85], v[82:83], off, offset:0,  sc0 sc1 // load C for beta calc
GLOBAL_OFFSET_D 82, 70, 65, sgprWorkGroup2, 72
v_mov_b32 v72, v82                                 // temp store offset 0
v_mov_b32 v73, v83                                 // temp store offset 1
v_cmp_lt_u32 s[38:39], v70, s[sgprSizesFree+0]     // coord0 < size0
v_cmp_lt_u32 s[40:41], v65, s[sgprSizesFree+1]     // coord1 < size1
s_and_b64 s[44:45], s[38:39], s[40:41]             // in0 && in1
s_mov_b64 exec, s[44:45]                           // sgprs -> exec
_v_add_co_u32 v82, vcc, v66, v72                   // addrVgpr = D + index*bytes (lo)
_v_addc_co_u32 v83, vcc, v67, v73, vcc             // addrVgpr = D + index*bytes (hi)
s_mov_b64 exec, -1                                 // full mask -1 -> exec
/* (d1,vc1,d0,vc0)=(1,0,0,0) */
_v_add_co_u32 v65, vcc, v65, 4                     // coord1.1: coord1Vgpr += d1*sg1*VW + vc1
GLOBAL_OFFSET_C 88, 64, 65, sgprWorkGroup2, 72
v_mov_b32 v72, v88                                 // temp store offset 0
v_mov_b32 v73, v89                                 // temp store offset 1
v_cmp_lt_u32 s[38:39], v64, s[sgprSizesFree+0]     // coord0 < size0
v_cmp_lt_u32 s[40:41], v65, s[sgprSizesFree+1]     // coord1 < size1
s_and_b64 s[46:47], s[38:39], s[40:41]             // in0 && in1
s_mov_b64 exec, s[46:47]                           // sgprs -> exec
_v_add_co_u32 v88, vcc, v68, v72                   // addrVgpr = C + index*bytes (lo)
_v_addc_co_u32 v89, vcc, v69, v73, vcc             // addrVgpr = C + index*bytes (hi)
_global_load_b64 v[90:91], v[88:89], off, offset:0,  sc0 sc1 // load C for beta calc
GLOBAL_OFFSET_D 88, 64, 65, sgprWorkGroup2, 72
v_mov_b32 v72, v88                                 // temp store offset 0
v_mov_b32 v73, v89                                 // temp store offset 1
v_cmp_lt_u32 s[38:39], v64, s[sgprSizesFree+0]     // coord0 < size0
v_cmp_lt_u32 s[40:41], v65, s[sgprSizesFree+1]     // coord1 < size1
s_and_b64 s[46:47], s[38:39], s[40:41]             // in0 && in1
s_mov_b64 exec, s[46:47]                           // sgprs -> exec
_v_add_co_u32 v88, vcc, v66, v72                   // addrVgpr = D + index*bytes (lo)
_v_addc_co_u32 v89, vcc, v67, v73, vcc             // addrVgpr = D + index*bytes (hi)
s_mov_b64 exec, -1                                 // full mask -1 -> exec
/* (d1,vc1,d0,vc0)=(1,0,0,1) */
_v_add_co_u32 v70, vcc, v64, 1                     // coord0.1: coord0 += d0*sg0*VW + vc0
GLOBAL_OFFSET_C 94, 70, 65, sgprWorkGroup2, 72
v_mov_b32 v72, v94                                 // temp store offset 0
v_mov_b32 v73, v95                                 // temp store offset 1
v_cmp_lt_u32 s[38:39], v70, s[sgprSizesFree+0]     // coord0 < size0
v_cmp_lt_u32 s[40:41], v65, s[sgprSizesFree+1]     // coord1 < size1
s_and_b64 s[48:49], s[38:39], s[40:41]             // in0 && in1
s_mov_b64 exec, s[48:49]                           // sgprs -> exec
_v_add_co_u32 v94, vcc, v68, v72                   // addrVgpr = C + index*bytes (lo)
_v_addc_co_u32 v95, vcc, v69, v73, vcc             // addrVgpr = C + index*bytes (hi)
_global_load_b64 v[96:97], v[94:95], off, offset:0,  sc0 sc1 // load C for beta calc
GLOBAL_OFFSET_D 94, 70, 65, sgprWorkGroup2, 72
v_mov_b32 v72, v94                                 // temp store offset 0
v_mov_b32 v73, v95                                 // temp store offset 1
v_cmp_lt_u32 s[38:39], v70, s[sgprSizesFree+0]     // coord0 < size0
v_cmp_lt_u32 s[40:41], v65, s[sgprSizesFree+1]     // coord1 < size1
s_and_b64 s[48:49], s[38:39], s[40:41]             // in0 && in1
s_mov_b64 exec, s[48:49]                           // sgprs -> exec
_v_add_co_u32 v94, vcc, v66, v72                   // addrVgpr = D + index*bytes (lo)
_v_addc_co_u32 v95, vcc, v67, v73, vcc             // addrVgpr = D + index*bytes (hi)
s_mov_b64 exec, -1                                 // full mask -1 -> exec
s_sleep 7 // optimization: sync and wait
s_barrier
s_waitcnt vmcnt(0)                                 // wait C

/* apply mask, calc new C and issue writes */
s_mov_b64 exec, s[42:43]                           // sgprs -> exec
v_fma_f64 v[vgprValuC+80:vgprValuC+80+1], v[78:79], s[sgprBeta:sgprBeta+1], v[vgprValuC+80:vgprValuC+80+1] // finalSum = sum*alpha + C*beta
_global_store_b64 v[76:77], v[80:81], off,  sc0 sc1 // store D
s_mov_b64 exec, s[44:45]                           // sgprs -> exec
v_fma_f64 v[vgprValuC+86:vgprValuC+86+1], v[84:85], s[sgprBeta:sgprBeta+1], v[vgprValuC+86:vgprValuC+86+1] // finalSum = sum*alpha + C*beta
_global_store_b64 v[82:83], v[86:87], off,  sc0 sc1 // store D
	;; [unrolled: 3-line block ×4, first 2 shown]
s_mov_b64 exec, -1                                 // full mask -> exec
s_nop 0                                            // 1 wait state required when next inst writes vgprs held by previous dwordx4 store inst
/* optSingleColVgpr=0 optSharedColVgpr=0 optSGPRUsage=None optSrdIncForRow=0 */
s_sleep 7 // optimization: sync and wait
s_barrier

/******************************************/
/* Global Write Alpha Beta Edge Batch #1 (d1,d0,vc1,vc0) = */
/*    (2,0,0,0:vw1); (2,0,0,1:vw1); (3,0,0,0:vw1); (3,0,0,1:vw1) */
/******************************************/

/* calc coords, apply mask, and issue loads (if necessary) */

/* rC *= alpha batchElements=[(2, 0, 0, 0), (2, 0, 0, 1), (3, 0, 0, 0), (3, 0, 0, 1)] */
v_mul_f64 v[vgprValuC+80:vgprValuC+80+1], s[sgprAlpha:sgprAlpha+1], v[vgprValuC+4:vgprValuC+4+1] // Multiply MI out reg with alpha
v_mul_f64 v[vgprValuC+86:vgprValuC+86+1], s[sgprAlpha:sgprAlpha+1], v[vgprValuC+12:vgprValuC+12+1] // Multiply MI out reg with alpha
	;; [unrolled: 1-line block ×4, first 2 shown]
/* (d1,vc1,d0,vc0)=(2,0,0,0) */
_v_add_co_u32 v65, vcc, v65, 4                     // coord1.1: coord1Vgpr += d1*sg1*VW + vc1
GLOBAL_OFFSET_C 76, 64, 65, sgprWorkGroup2, 72
v_mov_b32 v72, v76                                 // temp store offset 0
v_mov_b32 v73, v77                                 // temp store offset 1
v_cmp_lt_u32 s[38:39], v64, s[sgprSizesFree+0]     // coord0 < size0
v_cmp_lt_u32 s[40:41], v65, s[sgprSizesFree+1]     // coord1 < size1
s_and_b64 s[42:43], s[38:39], s[40:41]             // in0 && in1
s_mov_b64 exec, s[42:43]                           // sgprs -> exec
_v_add_co_u32 v76, vcc, v68, v72                   // addrVgpr = C + index*bytes (lo)
_v_addc_co_u32 v77, vcc, v69, v73, vcc             // addrVgpr = C + index*bytes (hi)
_global_load_b64 v[78:79], v[76:77], off, offset:0,  sc0 sc1 // load C for beta calc
GLOBAL_OFFSET_D 76, 64, 65, sgprWorkGroup2, 72
v_mov_b32 v72, v76                                 // temp store offset 0
v_mov_b32 v73, v77                                 // temp store offset 1
v_cmp_lt_u32 s[38:39], v64, s[sgprSizesFree+0]     // coord0 < size0
v_cmp_lt_u32 s[40:41], v65, s[sgprSizesFree+1]     // coord1 < size1
s_and_b64 s[42:43], s[38:39], s[40:41]             // in0 && in1
s_mov_b64 exec, s[42:43]                           // sgprs -> exec
_v_add_co_u32 v76, vcc, v66, v72                   // addrVgpr = D + index*bytes (lo)
_v_addc_co_u32 v77, vcc, v67, v73, vcc             // addrVgpr = D + index*bytes (hi)
s_mov_b64 exec, -1                                 // full mask -1 -> exec
/* (d1,vc1,d0,vc0)=(2,0,0,1) */
_v_add_co_u32 v70, vcc, v64, 1                     // coord0.1: coord0 += d0*sg0*VW + vc0
GLOBAL_OFFSET_C 82, 70, 65, sgprWorkGroup2, 72
v_mov_b32 v72, v82                                 // temp store offset 0
v_mov_b32 v73, v83                                 // temp store offset 1
v_cmp_lt_u32 s[38:39], v70, s[sgprSizesFree+0]     // coord0 < size0
v_cmp_lt_u32 s[40:41], v65, s[sgprSizesFree+1]     // coord1 < size1
s_and_b64 s[44:45], s[38:39], s[40:41]             // in0 && in1
s_mov_b64 exec, s[44:45]                           // sgprs -> exec
_v_add_co_u32 v82, vcc, v68, v72                   // addrVgpr = C + index*bytes (lo)
_v_addc_co_u32 v83, vcc, v69, v73, vcc             // addrVgpr = C + index*bytes (hi)
_global_load_b64 v[84:85], v[82:83], off, offset:0,  sc0 sc1 // load C for beta calc
GLOBAL_OFFSET_D 82, 70, 65, sgprWorkGroup2, 72
v_mov_b32 v72, v82                                 // temp store offset 0
v_mov_b32 v73, v83                                 // temp store offset 1
v_cmp_lt_u32 s[38:39], v70, s[sgprSizesFree+0]     // coord0 < size0
v_cmp_lt_u32 s[40:41], v65, s[sgprSizesFree+1]     // coord1 < size1
s_and_b64 s[44:45], s[38:39], s[40:41]             // in0 && in1
s_mov_b64 exec, s[44:45]                           // sgprs -> exec
_v_add_co_u32 v82, vcc, v66, v72                   // addrVgpr = D + index*bytes (lo)
_v_addc_co_u32 v83, vcc, v67, v73, vcc             // addrVgpr = D + index*bytes (hi)
s_mov_b64 exec, -1                                 // full mask -1 -> exec
/* (d1,vc1,d0,vc0)=(3,0,0,0) */
_v_add_co_u32 v65, vcc, v65, 4                     // coord1.1: coord1Vgpr += d1*sg1*VW + vc1
GLOBAL_OFFSET_C 88, 64, 65, sgprWorkGroup2, 72
v_mov_b32 v72, v88                                 // temp store offset 0
v_mov_b32 v73, v89                                 // temp store offset 1
v_cmp_lt_u32 s[38:39], v64, s[sgprSizesFree+0]     // coord0 < size0
v_cmp_lt_u32 s[40:41], v65, s[sgprSizesFree+1]     // coord1 < size1
s_and_b64 s[46:47], s[38:39], s[40:41]             // in0 && in1
s_mov_b64 exec, s[46:47]                           // sgprs -> exec
_v_add_co_u32 v88, vcc, v68, v72                   // addrVgpr = C + index*bytes (lo)
_v_addc_co_u32 v89, vcc, v69, v73, vcc             // addrVgpr = C + index*bytes (hi)
_global_load_b64 v[90:91], v[88:89], off, offset:0,  sc0 sc1 // load C for beta calc
GLOBAL_OFFSET_D 88, 64, 65, sgprWorkGroup2, 72
v_mov_b32 v72, v88                                 // temp store offset 0
v_mov_b32 v73, v89                                 // temp store offset 1
v_cmp_lt_u32 s[38:39], v64, s[sgprSizesFree+0]     // coord0 < size0
v_cmp_lt_u32 s[40:41], v65, s[sgprSizesFree+1]     // coord1 < size1
s_and_b64 s[46:47], s[38:39], s[40:41]             // in0 && in1
s_mov_b64 exec, s[46:47]                           // sgprs -> exec
_v_add_co_u32 v88, vcc, v66, v72                   // addrVgpr = D + index*bytes (lo)
_v_addc_co_u32 v89, vcc, v67, v73, vcc             // addrVgpr = D + index*bytes (hi)
s_mov_b64 exec, -1                                 // full mask -1 -> exec
/* (d1,vc1,d0,vc0)=(3,0,0,1) */
_v_add_co_u32 v70, vcc, v64, 1                     // coord0.1: coord0 += d0*sg0*VW + vc0
GLOBAL_OFFSET_C 94, 70, 65, sgprWorkGroup2, 72
v_mov_b32 v72, v94                                 // temp store offset 0
v_mov_b32 v73, v95                                 // temp store offset 1
v_cmp_lt_u32 s[38:39], v70, s[sgprSizesFree+0]     // coord0 < size0
v_cmp_lt_u32 s[40:41], v65, s[sgprSizesFree+1]     // coord1 < size1
s_and_b64 s[48:49], s[38:39], s[40:41]             // in0 && in1
s_mov_b64 exec, s[48:49]                           // sgprs -> exec
_v_add_co_u32 v94, vcc, v68, v72                   // addrVgpr = C + index*bytes (lo)
_v_addc_co_u32 v95, vcc, v69, v73, vcc             // addrVgpr = C + index*bytes (hi)
_global_load_b64 v[96:97], v[94:95], off, offset:0,  sc0 sc1 // load C for beta calc
GLOBAL_OFFSET_D 94, 70, 65, sgprWorkGroup2, 72
v_mov_b32 v72, v94                                 // temp store offset 0
v_mov_b32 v73, v95                                 // temp store offset 1
v_cmp_lt_u32 s[38:39], v70, s[sgprSizesFree+0]     // coord0 < size0
v_cmp_lt_u32 s[40:41], v65, s[sgprSizesFree+1]     // coord1 < size1
s_and_b64 s[48:49], s[38:39], s[40:41]             // in0 && in1
s_mov_b64 exec, s[48:49]                           // sgprs -> exec
_v_add_co_u32 v94, vcc, v66, v72                   // addrVgpr = D + index*bytes (lo)
_v_addc_co_u32 v95, vcc, v67, v73, vcc             // addrVgpr = D + index*bytes (hi)
s_mov_b64 exec, -1                                 // full mask -1 -> exec
s_sleep 7 // optimization: sync and wait
s_barrier
s_waitcnt vmcnt(0)                                 // wait C

/* apply mask, calc new C and issue writes */
s_mov_b64 exec, s[42:43]                           // sgprs -> exec
v_fma_f64 v[vgprValuC+80:vgprValuC+80+1], v[78:79], s[sgprBeta:sgprBeta+1], v[vgprValuC+80:vgprValuC+80+1] // finalSum = sum*alpha + C*beta
_global_store_b64 v[76:77], v[80:81], off,  sc0 sc1 // store D
s_mov_b64 exec, s[44:45]                           // sgprs -> exec
v_fma_f64 v[vgprValuC+86:vgprValuC+86+1], v[84:85], s[sgprBeta:sgprBeta+1], v[vgprValuC+86:vgprValuC+86+1] // finalSum = sum*alpha + C*beta
_global_store_b64 v[82:83], v[86:87], off,  sc0 sc1 // store D
	;; [unrolled: 3-line block ×4, first 2 shown]
s_mov_b64 exec, -1                                 // full mask -> exec
s_nop 0                                            // 1 wait state required when next inst writes vgprs held by previous dwordx4 store inst
/* optSingleColVgpr=0 optSharedColVgpr=0 optSGPRUsage=None optSrdIncForRow=0 */
s_sleep 7 // optimization: sync and wait
s_barrier

/******************************************/
/* Global Write Alpha Beta Edge Batch #2 (d1,d0,vc1,vc0) = */
/*    (4,0,0,0:vw1); (4,0,0,1:vw1); (5,0,0,0:vw1); (5,0,0,1:vw1) */
/******************************************/

/* calc coords, apply mask, and issue loads (if necessary) */

/* rC *= alpha batchElements=[(4, 0, 0, 0), (4, 0, 0, 1), (5, 0, 0, 0), (5, 0, 0, 1)] */
v_mul_f64 v[vgprValuC+80:vgprValuC+80+1], s[sgprAlpha:sgprAlpha+1], v[vgprValuC+16:vgprValuC+16+1] // Multiply MI out reg with alpha
v_mul_f64 v[vgprValuC+86:vgprValuC+86+1], s[sgprAlpha:sgprAlpha+1], v[vgprValuC+24:vgprValuC+24+1] // Multiply MI out reg with alpha
	;; [unrolled: 1-line block ×4, first 2 shown]
/* (d1,vc1,d0,vc0)=(4,0,0,0) */
_v_add_co_u32 v65, vcc, v65, 4                     // coord1.1: coord1Vgpr += d1*sg1*VW + vc1
GLOBAL_OFFSET_C 76, 64, 65, sgprWorkGroup2, 72
v_mov_b32 v72, v76                                 // temp store offset 0
v_mov_b32 v73, v77                                 // temp store offset 1
v_cmp_lt_u32 s[38:39], v64, s[sgprSizesFree+0]     // coord0 < size0
v_cmp_lt_u32 s[40:41], v65, s[sgprSizesFree+1]     // coord1 < size1
s_and_b64 s[42:43], s[38:39], s[40:41]             // in0 && in1
s_mov_b64 exec, s[42:43]                           // sgprs -> exec
_v_add_co_u32 v76, vcc, v68, v72                   // addrVgpr = C + index*bytes (lo)
_v_addc_co_u32 v77, vcc, v69, v73, vcc             // addrVgpr = C + index*bytes (hi)
_global_load_b64 v[78:79], v[76:77], off, offset:0,  sc0 sc1 // load C for beta calc
GLOBAL_OFFSET_D 76, 64, 65, sgprWorkGroup2, 72
v_mov_b32 v72, v76                                 // temp store offset 0
v_mov_b32 v73, v77                                 // temp store offset 1
v_cmp_lt_u32 s[38:39], v64, s[sgprSizesFree+0]     // coord0 < size0
v_cmp_lt_u32 s[40:41], v65, s[sgprSizesFree+1]     // coord1 < size1
s_and_b64 s[42:43], s[38:39], s[40:41]             // in0 && in1
s_mov_b64 exec, s[42:43]                           // sgprs -> exec
_v_add_co_u32 v76, vcc, v66, v72                   // addrVgpr = D + index*bytes (lo)
_v_addc_co_u32 v77, vcc, v67, v73, vcc             // addrVgpr = D + index*bytes (hi)
s_mov_b64 exec, -1                                 // full mask -1 -> exec
/* (d1,vc1,d0,vc0)=(4,0,0,1) */
_v_add_co_u32 v70, vcc, v64, 1                     // coord0.1: coord0 += d0*sg0*VW + vc0
GLOBAL_OFFSET_C 82, 70, 65, sgprWorkGroup2, 72
v_mov_b32 v72, v82                                 // temp store offset 0
v_mov_b32 v73, v83                                 // temp store offset 1
v_cmp_lt_u32 s[38:39], v70, s[sgprSizesFree+0]     // coord0 < size0
v_cmp_lt_u32 s[40:41], v65, s[sgprSizesFree+1]     // coord1 < size1
s_and_b64 s[44:45], s[38:39], s[40:41]             // in0 && in1
s_mov_b64 exec, s[44:45]                           // sgprs -> exec
_v_add_co_u32 v82, vcc, v68, v72                   // addrVgpr = C + index*bytes (lo)
_v_addc_co_u32 v83, vcc, v69, v73, vcc             // addrVgpr = C + index*bytes (hi)
_global_load_b64 v[84:85], v[82:83], off, offset:0,  sc0 sc1 // load C for beta calc
GLOBAL_OFFSET_D 82, 70, 65, sgprWorkGroup2, 72
v_mov_b32 v72, v82                                 // temp store offset 0
v_mov_b32 v73, v83                                 // temp store offset 1
v_cmp_lt_u32 s[38:39], v70, s[sgprSizesFree+0]     // coord0 < size0
v_cmp_lt_u32 s[40:41], v65, s[sgprSizesFree+1]     // coord1 < size1
s_and_b64 s[44:45], s[38:39], s[40:41]             // in0 && in1
s_mov_b64 exec, s[44:45]                           // sgprs -> exec
_v_add_co_u32 v82, vcc, v66, v72                   // addrVgpr = D + index*bytes (lo)
_v_addc_co_u32 v83, vcc, v67, v73, vcc             // addrVgpr = D + index*bytes (hi)
s_mov_b64 exec, -1                                 // full mask -1 -> exec
/* (d1,vc1,d0,vc0)=(5,0,0,0) */
_v_add_co_u32 v65, vcc, v65, 4                     // coord1.1: coord1Vgpr += d1*sg1*VW + vc1
GLOBAL_OFFSET_C 88, 64, 65, sgprWorkGroup2, 72
v_mov_b32 v72, v88                                 // temp store offset 0
v_mov_b32 v73, v89                                 // temp store offset 1
v_cmp_lt_u32 s[38:39], v64, s[sgprSizesFree+0]     // coord0 < size0
v_cmp_lt_u32 s[40:41], v65, s[sgprSizesFree+1]     // coord1 < size1
s_and_b64 s[46:47], s[38:39], s[40:41]             // in0 && in1
s_mov_b64 exec, s[46:47]                           // sgprs -> exec
_v_add_co_u32 v88, vcc, v68, v72                   // addrVgpr = C + index*bytes (lo)
_v_addc_co_u32 v89, vcc, v69, v73, vcc             // addrVgpr = C + index*bytes (hi)
_global_load_b64 v[90:91], v[88:89], off, offset:0,  sc0 sc1 // load C for beta calc
GLOBAL_OFFSET_D 88, 64, 65, sgprWorkGroup2, 72
v_mov_b32 v72, v88                                 // temp store offset 0
v_mov_b32 v73, v89                                 // temp store offset 1
v_cmp_lt_u32 s[38:39], v64, s[sgprSizesFree+0]     // coord0 < size0
v_cmp_lt_u32 s[40:41], v65, s[sgprSizesFree+1]     // coord1 < size1
s_and_b64 s[46:47], s[38:39], s[40:41]             // in0 && in1
s_mov_b64 exec, s[46:47]                           // sgprs -> exec
_v_add_co_u32 v88, vcc, v66, v72                   // addrVgpr = D + index*bytes (lo)
_v_addc_co_u32 v89, vcc, v67, v73, vcc             // addrVgpr = D + index*bytes (hi)
s_mov_b64 exec, -1                                 // full mask -1 -> exec
/* (d1,vc1,d0,vc0)=(5,0,0,1) */
_v_add_co_u32 v70, vcc, v64, 1                     // coord0.1: coord0 += d0*sg0*VW + vc0
GLOBAL_OFFSET_C 94, 70, 65, sgprWorkGroup2, 72
v_mov_b32 v72, v94                                 // temp store offset 0
v_mov_b32 v73, v95                                 // temp store offset 1
v_cmp_lt_u32 s[38:39], v70, s[sgprSizesFree+0]     // coord0 < size0
v_cmp_lt_u32 s[40:41], v65, s[sgprSizesFree+1]     // coord1 < size1
s_and_b64 s[48:49], s[38:39], s[40:41]             // in0 && in1
s_mov_b64 exec, s[48:49]                           // sgprs -> exec
_v_add_co_u32 v94, vcc, v68, v72                   // addrVgpr = C + index*bytes (lo)
_v_addc_co_u32 v95, vcc, v69, v73, vcc             // addrVgpr = C + index*bytes (hi)
_global_load_b64 v[96:97], v[94:95], off, offset:0,  sc0 sc1 // load C for beta calc
GLOBAL_OFFSET_D 94, 70, 65, sgprWorkGroup2, 72
v_mov_b32 v72, v94                                 // temp store offset 0
v_mov_b32 v73, v95                                 // temp store offset 1
v_cmp_lt_u32 s[38:39], v70, s[sgprSizesFree+0]     // coord0 < size0
v_cmp_lt_u32 s[40:41], v65, s[sgprSizesFree+1]     // coord1 < size1
s_and_b64 s[48:49], s[38:39], s[40:41]             // in0 && in1
s_mov_b64 exec, s[48:49]                           // sgprs -> exec
_v_add_co_u32 v94, vcc, v66, v72                   // addrVgpr = D + index*bytes (lo)
_v_addc_co_u32 v95, vcc, v67, v73, vcc             // addrVgpr = D + index*bytes (hi)
s_mov_b64 exec, -1                                 // full mask -1 -> exec
s_sleep 7 // optimization: sync and wait
s_barrier
s_waitcnt vmcnt(0)                                 // wait C

/* apply mask, calc new C and issue writes */
s_mov_b64 exec, s[42:43]                           // sgprs -> exec
v_fma_f64 v[vgprValuC+80:vgprValuC+80+1], v[78:79], s[sgprBeta:sgprBeta+1], v[vgprValuC+80:vgprValuC+80+1] // finalSum = sum*alpha + C*beta
_global_store_b64 v[76:77], v[80:81], off,  sc0 sc1 // store D
s_mov_b64 exec, s[44:45]                           // sgprs -> exec
v_fma_f64 v[vgprValuC+86:vgprValuC+86+1], v[84:85], s[sgprBeta:sgprBeta+1], v[vgprValuC+86:vgprValuC+86+1] // finalSum = sum*alpha + C*beta
_global_store_b64 v[82:83], v[86:87], off,  sc0 sc1 // store D
	;; [unrolled: 3-line block ×4, first 2 shown]
s_mov_b64 exec, -1                                 // full mask -> exec
s_nop 0                                            // 1 wait state required when next inst writes vgprs held by previous dwordx4 store inst
/* optSingleColVgpr=0 optSharedColVgpr=0 optSGPRUsage=None optSrdIncForRow=0 */
s_sleep 7 // optimization: sync and wait
s_barrier

/******************************************/
/* Global Write Alpha Beta Edge Batch #3 (d1,d0,vc1,vc0) = */
/*    (6,0,0,0:vw1); (6,0,0,1:vw1); (7,0,0,0:vw1); (7,0,0,1:vw1) */
/******************************************/

/* calc coords, apply mask, and issue loads (if necessary) */

/* rC *= alpha batchElements=[(6, 0, 0, 0), (6, 0, 0, 1), (7, 0, 0, 0), (7, 0, 0, 1)] */
v_mul_f64 v[vgprValuC+80:vgprValuC+80+1], s[sgprAlpha:sgprAlpha+1], v[vgprValuC+20:vgprValuC+20+1] // Multiply MI out reg with alpha
v_mul_f64 v[vgprValuC+86:vgprValuC+86+1], s[sgprAlpha:sgprAlpha+1], v[vgprValuC+28:vgprValuC+28+1] // Multiply MI out reg with alpha
v_mul_f64 v[vgprValuC+92:vgprValuC+92+1], s[sgprAlpha:sgprAlpha+1], v[vgprValuC+22:vgprValuC+22+1] // Multiply MI out reg with alpha
v_mul_f64 v[vgprValuC+98:vgprValuC+98+1], s[sgprAlpha:sgprAlpha+1], v[vgprValuC+30:vgprValuC+30+1] // Multiply MI out reg with alpha
/* (d1,vc1,d0,vc0)=(6,0,0,0) */
_v_add_co_u32 v65, vcc, v65, 4                     // coord1.1: coord1Vgpr += d1*sg1*VW + vc1
GLOBAL_OFFSET_C 76, 64, 65, sgprWorkGroup2, 72
v_mov_b32 v72, v76                                 // temp store offset 0
v_mov_b32 v73, v77                                 // temp store offset 1
v_cmp_lt_u32 s[38:39], v64, s[sgprSizesFree+0]     // coord0 < size0
v_cmp_lt_u32 s[40:41], v65, s[sgprSizesFree+1]     // coord1 < size1
s_and_b64 s[42:43], s[38:39], s[40:41]             // in0 && in1
s_mov_b64 exec, s[42:43]                           // sgprs -> exec
_v_add_co_u32 v76, vcc, v68, v72                   // addrVgpr = C + index*bytes (lo)
_v_addc_co_u32 v77, vcc, v69, v73, vcc             // addrVgpr = C + index*bytes (hi)
_global_load_b64 v[78:79], v[76:77], off, offset:0,  sc0 sc1 // load C for beta calc
GLOBAL_OFFSET_D 76, 64, 65, sgprWorkGroup2, 72
v_mov_b32 v72, v76                                 // temp store offset 0
v_mov_b32 v73, v77                                 // temp store offset 1
v_cmp_lt_u32 s[38:39], v64, s[sgprSizesFree+0]     // coord0 < size0
v_cmp_lt_u32 s[40:41], v65, s[sgprSizesFree+1]     // coord1 < size1
s_and_b64 s[42:43], s[38:39], s[40:41]             // in0 && in1
s_mov_b64 exec, s[42:43]                           // sgprs -> exec
_v_add_co_u32 v76, vcc, v66, v72                   // addrVgpr = D + index*bytes (lo)
_v_addc_co_u32 v77, vcc, v67, v73, vcc             // addrVgpr = D + index*bytes (hi)
s_mov_b64 exec, -1                                 // full mask -1 -> exec
/* (d1,vc1,d0,vc0)=(6,0,0,1) */
_v_add_co_u32 v70, vcc, v64, 1                     // coord0.1: coord0 += d0*sg0*VW + vc0
GLOBAL_OFFSET_C 82, 70, 65, sgprWorkGroup2, 72
v_mov_b32 v72, v82                                 // temp store offset 0
v_mov_b32 v73, v83                                 // temp store offset 1
v_cmp_lt_u32 s[38:39], v70, s[sgprSizesFree+0]     // coord0 < size0
v_cmp_lt_u32 s[40:41], v65, s[sgprSizesFree+1]     // coord1 < size1
s_and_b64 s[44:45], s[38:39], s[40:41]             // in0 && in1
s_mov_b64 exec, s[44:45]                           // sgprs -> exec
_v_add_co_u32 v82, vcc, v68, v72                   // addrVgpr = C + index*bytes (lo)
_v_addc_co_u32 v83, vcc, v69, v73, vcc             // addrVgpr = C + index*bytes (hi)
_global_load_b64 v[84:85], v[82:83], off, offset:0,  sc0 sc1 // load C for beta calc
GLOBAL_OFFSET_D 82, 70, 65, sgprWorkGroup2, 72
v_mov_b32 v72, v82                                 // temp store offset 0
v_mov_b32 v73, v83                                 // temp store offset 1
v_cmp_lt_u32 s[38:39], v70, s[sgprSizesFree+0]     // coord0 < size0
v_cmp_lt_u32 s[40:41], v65, s[sgprSizesFree+1]     // coord1 < size1
s_and_b64 s[44:45], s[38:39], s[40:41]             // in0 && in1
s_mov_b64 exec, s[44:45]                           // sgprs -> exec
_v_add_co_u32 v82, vcc, v66, v72                   // addrVgpr = D + index*bytes (lo)
_v_addc_co_u32 v83, vcc, v67, v73, vcc             // addrVgpr = D + index*bytes (hi)
s_mov_b64 exec, -1                                 // full mask -1 -> exec
/* (d1,vc1,d0,vc0)=(7,0,0,0) */
_v_add_co_u32 v65, vcc, v65, 4                     // coord1.1: coord1Vgpr += d1*sg1*VW + vc1
GLOBAL_OFFSET_C 88, 64, 65, sgprWorkGroup2, 72
v_mov_b32 v72, v88                                 // temp store offset 0
v_mov_b32 v73, v89                                 // temp store offset 1
v_cmp_lt_u32 s[38:39], v64, s[sgprSizesFree+0]     // coord0 < size0
v_cmp_lt_u32 s[40:41], v65, s[sgprSizesFree+1]     // coord1 < size1
s_and_b64 s[46:47], s[38:39], s[40:41]             // in0 && in1
s_mov_b64 exec, s[46:47]                           // sgprs -> exec
_v_add_co_u32 v88, vcc, v68, v72                   // addrVgpr = C + index*bytes (lo)
_v_addc_co_u32 v89, vcc, v69, v73, vcc             // addrVgpr = C + index*bytes (hi)
_global_load_b64 v[90:91], v[88:89], off, offset:0,  sc0 sc1 // load C for beta calc
GLOBAL_OFFSET_D 88, 64, 65, sgprWorkGroup2, 72
v_mov_b32 v72, v88                                 // temp store offset 0
v_mov_b32 v73, v89                                 // temp store offset 1
v_cmp_lt_u32 s[38:39], v64, s[sgprSizesFree+0]     // coord0 < size0
v_cmp_lt_u32 s[40:41], v65, s[sgprSizesFree+1]     // coord1 < size1
s_and_b64 s[46:47], s[38:39], s[40:41]             // in0 && in1
s_mov_b64 exec, s[46:47]                           // sgprs -> exec
_v_add_co_u32 v88, vcc, v66, v72                   // addrVgpr = D + index*bytes (lo)
_v_addc_co_u32 v89, vcc, v67, v73, vcc             // addrVgpr = D + index*bytes (hi)
s_mov_b64 exec, -1                                 // full mask -1 -> exec
/* (d1,vc1,d0,vc0)=(7,0,0,1) */
_v_add_co_u32 v70, vcc, v64, 1                     // coord0.1: coord0 += d0*sg0*VW + vc0
GLOBAL_OFFSET_C 94, 70, 65, sgprWorkGroup2, 72
v_mov_b32 v72, v94                                 // temp store offset 0
v_mov_b32 v73, v95                                 // temp store offset 1
v_cmp_lt_u32 s[38:39], v70, s[sgprSizesFree+0]     // coord0 < size0
v_cmp_lt_u32 s[40:41], v65, s[sgprSizesFree+1]     // coord1 < size1
s_and_b64 s[48:49], s[38:39], s[40:41]             // in0 && in1
s_mov_b64 exec, s[48:49]                           // sgprs -> exec
_v_add_co_u32 v94, vcc, v68, v72                   // addrVgpr = C + index*bytes (lo)
_v_addc_co_u32 v95, vcc, v69, v73, vcc             // addrVgpr = C + index*bytes (hi)
_global_load_b64 v[96:97], v[94:95], off, offset:0,  sc0 sc1 // load C for beta calc
GLOBAL_OFFSET_D 94, 70, 65, sgprWorkGroup2, 72
v_mov_b32 v72, v94                                 // temp store offset 0
v_mov_b32 v73, v95                                 // temp store offset 1
v_cmp_lt_u32 s[38:39], v70, s[sgprSizesFree+0]     // coord0 < size0
v_cmp_lt_u32 s[40:41], v65, s[sgprSizesFree+1]     // coord1 < size1
s_and_b64 s[48:49], s[38:39], s[40:41]             // in0 && in1
s_mov_b64 exec, s[48:49]                           // sgprs -> exec
_v_add_co_u32 v94, vcc, v66, v72                   // addrVgpr = D + index*bytes (lo)
_v_addc_co_u32 v95, vcc, v67, v73, vcc             // addrVgpr = D + index*bytes (hi)
s_mov_b64 exec, -1                                 // full mask -1 -> exec
s_sleep 7 // optimization: sync and wait
s_barrier
s_waitcnt vmcnt(0)                                 // wait C

/* apply mask, calc new C and issue writes */
s_mov_b64 exec, s[42:43]                           // sgprs -> exec
v_fma_f64 v[vgprValuC+80:vgprValuC+80+1], v[78:79], s[sgprBeta:sgprBeta+1], v[vgprValuC+80:vgprValuC+80+1] // finalSum = sum*alpha + C*beta
_global_store_b64 v[76:77], v[80:81], off,  sc0 sc1 // store D
s_mov_b64 exec, s[44:45]                           // sgprs -> exec
v_fma_f64 v[vgprValuC+86:vgprValuC+86+1], v[84:85], s[sgprBeta:sgprBeta+1], v[vgprValuC+86:vgprValuC+86+1] // finalSum = sum*alpha + C*beta
_global_store_b64 v[82:83], v[86:87], off,  sc0 sc1 // store D
	;; [unrolled: 3-line block ×4, first 2 shown]
s_mov_b64 exec, -1                                 // full mask -> exec
s_nop 0                                            // 1 wait state required when next inst writes vgprs held by previous dwordx4 store inst
/* optSingleColVgpr=0 optSharedColVgpr=0 optSGPRUsage=None optSrdIncForRow=0 */
s_sleep 7 // optimization: sync and wait
s_barrier

/******************************************/
/* Global Write Alpha Beta Edge Batch #4 (d1,d0,vc1,vc0) = */
/*    (8,0,0,0:vw1); (8,0,0,1:vw1); (9,0,0,0:vw1); (9,0,0,1:vw1) */
/******************************************/

/* calc coords, apply mask, and issue loads (if necessary) */

/* rC *= alpha batchElements=[(8, 0, 0, 0), (8, 0, 0, 1), (9, 0, 0, 0), (9, 0, 0, 1)] */
v_mul_f64 v[vgprValuC+80:vgprValuC+80+1], s[sgprAlpha:sgprAlpha+1], v[vgprValuC+32:vgprValuC+32+1] // Multiply MI out reg with alpha
v_mul_f64 v[vgprValuC+86:vgprValuC+86+1], s[sgprAlpha:sgprAlpha+1], v[vgprValuC+40:vgprValuC+40+1] // Multiply MI out reg with alpha
	;; [unrolled: 1-line block ×4, first 2 shown]
/* (d1,vc1,d0,vc0)=(8,0,0,0) */
_v_add_co_u32 v65, vcc, v65, 4                     // coord1.1: coord1Vgpr += d1*sg1*VW + vc1
GLOBAL_OFFSET_C 76, 64, 65, sgprWorkGroup2, 72
v_mov_b32 v72, v76                                 // temp store offset 0
v_mov_b32 v73, v77                                 // temp store offset 1
v_cmp_lt_u32 s[38:39], v64, s[sgprSizesFree+0]     // coord0 < size0
v_cmp_lt_u32 s[40:41], v65, s[sgprSizesFree+1]     // coord1 < size1
s_and_b64 s[42:43], s[38:39], s[40:41]             // in0 && in1
s_mov_b64 exec, s[42:43]                           // sgprs -> exec
_v_add_co_u32 v76, vcc, v68, v72                   // addrVgpr = C + index*bytes (lo)
_v_addc_co_u32 v77, vcc, v69, v73, vcc             // addrVgpr = C + index*bytes (hi)
_global_load_b64 v[78:79], v[76:77], off, offset:0,  sc0 sc1 // load C for beta calc
GLOBAL_OFFSET_D 76, 64, 65, sgprWorkGroup2, 72
v_mov_b32 v72, v76                                 // temp store offset 0
v_mov_b32 v73, v77                                 // temp store offset 1
v_cmp_lt_u32 s[38:39], v64, s[sgprSizesFree+0]     // coord0 < size0
v_cmp_lt_u32 s[40:41], v65, s[sgprSizesFree+1]     // coord1 < size1
s_and_b64 s[42:43], s[38:39], s[40:41]             // in0 && in1
s_mov_b64 exec, s[42:43]                           // sgprs -> exec
_v_add_co_u32 v76, vcc, v66, v72                   // addrVgpr = D + index*bytes (lo)
_v_addc_co_u32 v77, vcc, v67, v73, vcc             // addrVgpr = D + index*bytes (hi)
s_mov_b64 exec, -1                                 // full mask -1 -> exec
/* (d1,vc1,d0,vc0)=(8,0,0,1) */
_v_add_co_u32 v70, vcc, v64, 1                     // coord0.1: coord0 += d0*sg0*VW + vc0
GLOBAL_OFFSET_C 82, 70, 65, sgprWorkGroup2, 72
v_mov_b32 v72, v82                                 // temp store offset 0
v_mov_b32 v73, v83                                 // temp store offset 1
v_cmp_lt_u32 s[38:39], v70, s[sgprSizesFree+0]     // coord0 < size0
v_cmp_lt_u32 s[40:41], v65, s[sgprSizesFree+1]     // coord1 < size1
s_and_b64 s[44:45], s[38:39], s[40:41]             // in0 && in1
s_mov_b64 exec, s[44:45]                           // sgprs -> exec
_v_add_co_u32 v82, vcc, v68, v72                   // addrVgpr = C + index*bytes (lo)
_v_addc_co_u32 v83, vcc, v69, v73, vcc             // addrVgpr = C + index*bytes (hi)
_global_load_b64 v[84:85], v[82:83], off, offset:0,  sc0 sc1 // load C for beta calc
GLOBAL_OFFSET_D 82, 70, 65, sgprWorkGroup2, 72
v_mov_b32 v72, v82                                 // temp store offset 0
v_mov_b32 v73, v83                                 // temp store offset 1
v_cmp_lt_u32 s[38:39], v70, s[sgprSizesFree+0]     // coord0 < size0
v_cmp_lt_u32 s[40:41], v65, s[sgprSizesFree+1]     // coord1 < size1
s_and_b64 s[44:45], s[38:39], s[40:41]             // in0 && in1
s_mov_b64 exec, s[44:45]                           // sgprs -> exec
_v_add_co_u32 v82, vcc, v66, v72                   // addrVgpr = D + index*bytes (lo)
_v_addc_co_u32 v83, vcc, v67, v73, vcc             // addrVgpr = D + index*bytes (hi)
s_mov_b64 exec, -1                                 // full mask -1 -> exec
/* (d1,vc1,d0,vc0)=(9,0,0,0) */
_v_add_co_u32 v65, vcc, v65, 4                     // coord1.1: coord1Vgpr += d1*sg1*VW + vc1
GLOBAL_OFFSET_C 88, 64, 65, sgprWorkGroup2, 72
v_mov_b32 v72, v88                                 // temp store offset 0
v_mov_b32 v73, v89                                 // temp store offset 1
v_cmp_lt_u32 s[38:39], v64, s[sgprSizesFree+0]     // coord0 < size0
v_cmp_lt_u32 s[40:41], v65, s[sgprSizesFree+1]     // coord1 < size1
s_and_b64 s[46:47], s[38:39], s[40:41]             // in0 && in1
s_mov_b64 exec, s[46:47]                           // sgprs -> exec
_v_add_co_u32 v88, vcc, v68, v72                   // addrVgpr = C + index*bytes (lo)
_v_addc_co_u32 v89, vcc, v69, v73, vcc             // addrVgpr = C + index*bytes (hi)
_global_load_b64 v[90:91], v[88:89], off, offset:0,  sc0 sc1 // load C for beta calc
GLOBAL_OFFSET_D 88, 64, 65, sgprWorkGroup2, 72
v_mov_b32 v72, v88                                 // temp store offset 0
v_mov_b32 v73, v89                                 // temp store offset 1
v_cmp_lt_u32 s[38:39], v64, s[sgprSizesFree+0]     // coord0 < size0
v_cmp_lt_u32 s[40:41], v65, s[sgprSizesFree+1]     // coord1 < size1
s_and_b64 s[46:47], s[38:39], s[40:41]             // in0 && in1
s_mov_b64 exec, s[46:47]                           // sgprs -> exec
_v_add_co_u32 v88, vcc, v66, v72                   // addrVgpr = D + index*bytes (lo)
_v_addc_co_u32 v89, vcc, v67, v73, vcc             // addrVgpr = D + index*bytes (hi)
s_mov_b64 exec, -1                                 // full mask -1 -> exec
/* (d1,vc1,d0,vc0)=(9,0,0,1) */
_v_add_co_u32 v70, vcc, v64, 1                     // coord0.1: coord0 += d0*sg0*VW + vc0
GLOBAL_OFFSET_C 94, 70, 65, sgprWorkGroup2, 72
v_mov_b32 v72, v94                                 // temp store offset 0
v_mov_b32 v73, v95                                 // temp store offset 1
v_cmp_lt_u32 s[38:39], v70, s[sgprSizesFree+0]     // coord0 < size0
v_cmp_lt_u32 s[40:41], v65, s[sgprSizesFree+1]     // coord1 < size1
s_and_b64 s[48:49], s[38:39], s[40:41]             // in0 && in1
s_mov_b64 exec, s[48:49]                           // sgprs -> exec
_v_add_co_u32 v94, vcc, v68, v72                   // addrVgpr = C + index*bytes (lo)
_v_addc_co_u32 v95, vcc, v69, v73, vcc             // addrVgpr = C + index*bytes (hi)
_global_load_b64 v[96:97], v[94:95], off, offset:0,  sc0 sc1 // load C for beta calc
GLOBAL_OFFSET_D 94, 70, 65, sgprWorkGroup2, 72
v_mov_b32 v72, v94                                 // temp store offset 0
v_mov_b32 v73, v95                                 // temp store offset 1
v_cmp_lt_u32 s[38:39], v70, s[sgprSizesFree+0]     // coord0 < size0
v_cmp_lt_u32 s[40:41], v65, s[sgprSizesFree+1]     // coord1 < size1
s_and_b64 s[48:49], s[38:39], s[40:41]             // in0 && in1
s_mov_b64 exec, s[48:49]                           // sgprs -> exec
_v_add_co_u32 v94, vcc, v66, v72                   // addrVgpr = D + index*bytes (lo)
_v_addc_co_u32 v95, vcc, v67, v73, vcc             // addrVgpr = D + index*bytes (hi)
s_mov_b64 exec, -1                                 // full mask -1 -> exec
s_sleep 7 // optimization: sync and wait
s_barrier
s_waitcnt vmcnt(0)                                 // wait C

/* apply mask, calc new C and issue writes */
s_mov_b64 exec, s[42:43]                           // sgprs -> exec
v_fma_f64 v[vgprValuC+80:vgprValuC+80+1], v[78:79], s[sgprBeta:sgprBeta+1], v[vgprValuC+80:vgprValuC+80+1] // finalSum = sum*alpha + C*beta
_global_store_b64 v[76:77], v[80:81], off,  sc0 sc1 // store D
s_mov_b64 exec, s[44:45]                           // sgprs -> exec
v_fma_f64 v[vgprValuC+86:vgprValuC+86+1], v[84:85], s[sgprBeta:sgprBeta+1], v[vgprValuC+86:vgprValuC+86+1] // finalSum = sum*alpha + C*beta
_global_store_b64 v[82:83], v[86:87], off,  sc0 sc1 // store D
	;; [unrolled: 3-line block ×4, first 2 shown]
s_mov_b64 exec, -1                                 // full mask -> exec
s_nop 0                                            // 1 wait state required when next inst writes vgprs held by previous dwordx4 store inst
/* optSingleColVgpr=0 optSharedColVgpr=0 optSGPRUsage=None optSrdIncForRow=0 */
s_sleep 7 // optimization: sync and wait
s_barrier

/******************************************/
/* Global Write Alpha Beta Edge Batch #5 (d1,d0,vc1,vc0) = */
/*    (10,0,0,0:vw1); (10,0,0,1:vw1); (11,0,0,0:vw1); (11,0,0,1:vw1) */
/******************************************/

/* calc coords, apply mask, and issue loads (if necessary) */

/* rC *= alpha batchElements=[(10, 0, 0, 0), (10, 0, 0, 1), (11, 0, 0, 0), (11, 0, 0, 1)] */
v_mul_f64 v[vgprValuC+80:vgprValuC+80+1], s[sgprAlpha:sgprAlpha+1], v[vgprValuC+36:vgprValuC+36+1] // Multiply MI out reg with alpha
v_mul_f64 v[vgprValuC+86:vgprValuC+86+1], s[sgprAlpha:sgprAlpha+1], v[vgprValuC+44:vgprValuC+44+1] // Multiply MI out reg with alpha
	;; [unrolled: 1-line block ×4, first 2 shown]
/* (d1,vc1,d0,vc0)=(10,0,0,0) */
_v_add_co_u32 v65, vcc, v65, 4                     // coord1.1: coord1Vgpr += d1*sg1*VW + vc1
GLOBAL_OFFSET_C 76, 64, 65, sgprWorkGroup2, 72
v_mov_b32 v72, v76                                 // temp store offset 0
v_mov_b32 v73, v77                                 // temp store offset 1
v_cmp_lt_u32 s[38:39], v64, s[sgprSizesFree+0]     // coord0 < size0
v_cmp_lt_u32 s[40:41], v65, s[sgprSizesFree+1]     // coord1 < size1
s_and_b64 s[42:43], s[38:39], s[40:41]             // in0 && in1
s_mov_b64 exec, s[42:43]                           // sgprs -> exec
_v_add_co_u32 v76, vcc, v68, v72                   // addrVgpr = C + index*bytes (lo)
_v_addc_co_u32 v77, vcc, v69, v73, vcc             // addrVgpr = C + index*bytes (hi)
_global_load_b64 v[78:79], v[76:77], off, offset:0,  sc0 sc1 // load C for beta calc
GLOBAL_OFFSET_D 76, 64, 65, sgprWorkGroup2, 72
v_mov_b32 v72, v76                                 // temp store offset 0
v_mov_b32 v73, v77                                 // temp store offset 1
v_cmp_lt_u32 s[38:39], v64, s[sgprSizesFree+0]     // coord0 < size0
v_cmp_lt_u32 s[40:41], v65, s[sgprSizesFree+1]     // coord1 < size1
s_and_b64 s[42:43], s[38:39], s[40:41]             // in0 && in1
s_mov_b64 exec, s[42:43]                           // sgprs -> exec
_v_add_co_u32 v76, vcc, v66, v72                   // addrVgpr = D + index*bytes (lo)
_v_addc_co_u32 v77, vcc, v67, v73, vcc             // addrVgpr = D + index*bytes (hi)
s_mov_b64 exec, -1                                 // full mask -1 -> exec
/* (d1,vc1,d0,vc0)=(10,0,0,1) */
_v_add_co_u32 v70, vcc, v64, 1                     // coord0.1: coord0 += d0*sg0*VW + vc0
GLOBAL_OFFSET_C 82, 70, 65, sgprWorkGroup2, 72
v_mov_b32 v72, v82                                 // temp store offset 0
v_mov_b32 v73, v83                                 // temp store offset 1
v_cmp_lt_u32 s[38:39], v70, s[sgprSizesFree+0]     // coord0 < size0
v_cmp_lt_u32 s[40:41], v65, s[sgprSizesFree+1]     // coord1 < size1
s_and_b64 s[44:45], s[38:39], s[40:41]             // in0 && in1
s_mov_b64 exec, s[44:45]                           // sgprs -> exec
_v_add_co_u32 v82, vcc, v68, v72                   // addrVgpr = C + index*bytes (lo)
_v_addc_co_u32 v83, vcc, v69, v73, vcc             // addrVgpr = C + index*bytes (hi)
_global_load_b64 v[84:85], v[82:83], off, offset:0,  sc0 sc1 // load C for beta calc
GLOBAL_OFFSET_D 82, 70, 65, sgprWorkGroup2, 72
v_mov_b32 v72, v82                                 // temp store offset 0
v_mov_b32 v73, v83                                 // temp store offset 1
v_cmp_lt_u32 s[38:39], v70, s[sgprSizesFree+0]     // coord0 < size0
v_cmp_lt_u32 s[40:41], v65, s[sgprSizesFree+1]     // coord1 < size1
s_and_b64 s[44:45], s[38:39], s[40:41]             // in0 && in1
s_mov_b64 exec, s[44:45]                           // sgprs -> exec
_v_add_co_u32 v82, vcc, v66, v72                   // addrVgpr = D + index*bytes (lo)
_v_addc_co_u32 v83, vcc, v67, v73, vcc             // addrVgpr = D + index*bytes (hi)
s_mov_b64 exec, -1                                 // full mask -1 -> exec
/* (d1,vc1,d0,vc0)=(11,0,0,0) */
_v_add_co_u32 v65, vcc, v65, 4                     // coord1.1: coord1Vgpr += d1*sg1*VW + vc1
GLOBAL_OFFSET_C 88, 64, 65, sgprWorkGroup2, 72
v_mov_b32 v72, v88                                 // temp store offset 0
v_mov_b32 v73, v89                                 // temp store offset 1
v_cmp_lt_u32 s[38:39], v64, s[sgprSizesFree+0]     // coord0 < size0
v_cmp_lt_u32 s[40:41], v65, s[sgprSizesFree+1]     // coord1 < size1
s_and_b64 s[46:47], s[38:39], s[40:41]             // in0 && in1
s_mov_b64 exec, s[46:47]                           // sgprs -> exec
_v_add_co_u32 v88, vcc, v68, v72                   // addrVgpr = C + index*bytes (lo)
_v_addc_co_u32 v89, vcc, v69, v73, vcc             // addrVgpr = C + index*bytes (hi)
_global_load_b64 v[90:91], v[88:89], off, offset:0,  sc0 sc1 // load C for beta calc
GLOBAL_OFFSET_D 88, 64, 65, sgprWorkGroup2, 72
v_mov_b32 v72, v88                                 // temp store offset 0
v_mov_b32 v73, v89                                 // temp store offset 1
v_cmp_lt_u32 s[38:39], v64, s[sgprSizesFree+0]     // coord0 < size0
v_cmp_lt_u32 s[40:41], v65, s[sgprSizesFree+1]     // coord1 < size1
s_and_b64 s[46:47], s[38:39], s[40:41]             // in0 && in1
s_mov_b64 exec, s[46:47]                           // sgprs -> exec
_v_add_co_u32 v88, vcc, v66, v72                   // addrVgpr = D + index*bytes (lo)
_v_addc_co_u32 v89, vcc, v67, v73, vcc             // addrVgpr = D + index*bytes (hi)
s_mov_b64 exec, -1                                 // full mask -1 -> exec
/* (d1,vc1,d0,vc0)=(11,0,0,1) */
_v_add_co_u32 v70, vcc, v64, 1                     // coord0.1: coord0 += d0*sg0*VW + vc0
GLOBAL_OFFSET_C 94, 70, 65, sgprWorkGroup2, 72
v_mov_b32 v72, v94                                 // temp store offset 0
v_mov_b32 v73, v95                                 // temp store offset 1
v_cmp_lt_u32 s[38:39], v70, s[sgprSizesFree+0]     // coord0 < size0
v_cmp_lt_u32 s[40:41], v65, s[sgprSizesFree+1]     // coord1 < size1
s_and_b64 s[48:49], s[38:39], s[40:41]             // in0 && in1
s_mov_b64 exec, s[48:49]                           // sgprs -> exec
_v_add_co_u32 v94, vcc, v68, v72                   // addrVgpr = C + index*bytes (lo)
_v_addc_co_u32 v95, vcc, v69, v73, vcc             // addrVgpr = C + index*bytes (hi)
_global_load_b64 v[96:97], v[94:95], off, offset:0,  sc0 sc1 // load C for beta calc
GLOBAL_OFFSET_D 94, 70, 65, sgprWorkGroup2, 72
v_mov_b32 v72, v94                                 // temp store offset 0
v_mov_b32 v73, v95                                 // temp store offset 1
v_cmp_lt_u32 s[38:39], v70, s[sgprSizesFree+0]     // coord0 < size0
v_cmp_lt_u32 s[40:41], v65, s[sgprSizesFree+1]     // coord1 < size1
s_and_b64 s[48:49], s[38:39], s[40:41]             // in0 && in1
s_mov_b64 exec, s[48:49]                           // sgprs -> exec
_v_add_co_u32 v94, vcc, v66, v72                   // addrVgpr = D + index*bytes (lo)
_v_addc_co_u32 v95, vcc, v67, v73, vcc             // addrVgpr = D + index*bytes (hi)
s_mov_b64 exec, -1                                 // full mask -1 -> exec
s_sleep 7 // optimization: sync and wait
s_barrier
s_waitcnt vmcnt(0)                                 // wait C

/* apply mask, calc new C and issue writes */
s_mov_b64 exec, s[42:43]                           // sgprs -> exec
v_fma_f64 v[vgprValuC+80:vgprValuC+80+1], v[78:79], s[sgprBeta:sgprBeta+1], v[vgprValuC+80:vgprValuC+80+1] // finalSum = sum*alpha + C*beta
_global_store_b64 v[76:77], v[80:81], off,  sc0 sc1 // store D
s_mov_b64 exec, s[44:45]                           // sgprs -> exec
v_fma_f64 v[vgprValuC+86:vgprValuC+86+1], v[84:85], s[sgprBeta:sgprBeta+1], v[vgprValuC+86:vgprValuC+86+1] // finalSum = sum*alpha + C*beta
_global_store_b64 v[82:83], v[86:87], off,  sc0 sc1 // store D
	;; [unrolled: 3-line block ×4, first 2 shown]
s_mov_b64 exec, -1                                 // full mask -> exec
s_nop 0                                            // 1 wait state required when next inst writes vgprs held by previous dwordx4 store inst
/* optSingleColVgpr=0 optSharedColVgpr=0 optSGPRUsage=None optSrdIncForRow=0 */
s_sleep 7 // optimization: sync and wait
s_barrier

/******************************************/
/* Global Write Alpha Beta Edge Batch #6 (d1,d0,vc1,vc0) = */
/*    (12,0,0,0:vw1); (12,0,0,1:vw1); (13,0,0,0:vw1); (13,0,0,1:vw1) */
/******************************************/

/* calc coords, apply mask, and issue loads (if necessary) */

/* rC *= alpha batchElements=[(12, 0, 0, 0), (12, 0, 0, 1), (13, 0, 0, 0), (13, 0, 0, 1)] */
v_mul_f64 v[vgprValuC+80:vgprValuC+80+1], s[sgprAlpha:sgprAlpha+1], v[vgprValuC+48:vgprValuC+48+1] // Multiply MI out reg with alpha
v_mul_f64 v[vgprValuC+86:vgprValuC+86+1], s[sgprAlpha:sgprAlpha+1], v[vgprValuC+56:vgprValuC+56+1] // Multiply MI out reg with alpha
v_mul_f64 v[vgprValuC+92:vgprValuC+92+1], s[sgprAlpha:sgprAlpha+1], v[vgprValuC+50:vgprValuC+50+1] // Multiply MI out reg with alpha
v_mul_f64 v[vgprValuC+98:vgprValuC+98+1], s[sgprAlpha:sgprAlpha+1], v[vgprValuC+58:vgprValuC+58+1] // Multiply MI out reg with alpha
/* (d1,vc1,d0,vc0)=(12,0,0,0) */
_v_add_co_u32 v65, vcc, v65, 4                     // coord1.1: coord1Vgpr += d1*sg1*VW + vc1
GLOBAL_OFFSET_C 76, 64, 65, sgprWorkGroup2, 72
v_mov_b32 v72, v76                                 // temp store offset 0
v_mov_b32 v73, v77                                 // temp store offset 1
v_cmp_lt_u32 s[38:39], v64, s[sgprSizesFree+0]     // coord0 < size0
v_cmp_lt_u32 s[40:41], v65, s[sgprSizesFree+1]     // coord1 < size1
s_and_b64 s[42:43], s[38:39], s[40:41]             // in0 && in1
s_mov_b64 exec, s[42:43]                           // sgprs -> exec
_v_add_co_u32 v76, vcc, v68, v72                   // addrVgpr = C + index*bytes (lo)
_v_addc_co_u32 v77, vcc, v69, v73, vcc             // addrVgpr = C + index*bytes (hi)
_global_load_b64 v[78:79], v[76:77], off, offset:0,  sc0 sc1 // load C for beta calc
GLOBAL_OFFSET_D 76, 64, 65, sgprWorkGroup2, 72
v_mov_b32 v72, v76                                 // temp store offset 0
v_mov_b32 v73, v77                                 // temp store offset 1
v_cmp_lt_u32 s[38:39], v64, s[sgprSizesFree+0]     // coord0 < size0
v_cmp_lt_u32 s[40:41], v65, s[sgprSizesFree+1]     // coord1 < size1
s_and_b64 s[42:43], s[38:39], s[40:41]             // in0 && in1
s_mov_b64 exec, s[42:43]                           // sgprs -> exec
_v_add_co_u32 v76, vcc, v66, v72                   // addrVgpr = D + index*bytes (lo)
_v_addc_co_u32 v77, vcc, v67, v73, vcc             // addrVgpr = D + index*bytes (hi)
s_mov_b64 exec, -1                                 // full mask -1 -> exec
/* (d1,vc1,d0,vc0)=(12,0,0,1) */
_v_add_co_u32 v70, vcc, v64, 1                     // coord0.1: coord0 += d0*sg0*VW + vc0
GLOBAL_OFFSET_C 82, 70, 65, sgprWorkGroup2, 72
v_mov_b32 v72, v82                                 // temp store offset 0
v_mov_b32 v73, v83                                 // temp store offset 1
v_cmp_lt_u32 s[38:39], v70, s[sgprSizesFree+0]     // coord0 < size0
v_cmp_lt_u32 s[40:41], v65, s[sgprSizesFree+1]     // coord1 < size1
s_and_b64 s[44:45], s[38:39], s[40:41]             // in0 && in1
s_mov_b64 exec, s[44:45]                           // sgprs -> exec
_v_add_co_u32 v82, vcc, v68, v72                   // addrVgpr = C + index*bytes (lo)
_v_addc_co_u32 v83, vcc, v69, v73, vcc             // addrVgpr = C + index*bytes (hi)
_global_load_b64 v[84:85], v[82:83], off, offset:0,  sc0 sc1 // load C for beta calc
GLOBAL_OFFSET_D 82, 70, 65, sgprWorkGroup2, 72
v_mov_b32 v72, v82                                 // temp store offset 0
v_mov_b32 v73, v83                                 // temp store offset 1
v_cmp_lt_u32 s[38:39], v70, s[sgprSizesFree+0]     // coord0 < size0
v_cmp_lt_u32 s[40:41], v65, s[sgprSizesFree+1]     // coord1 < size1
s_and_b64 s[44:45], s[38:39], s[40:41]             // in0 && in1
s_mov_b64 exec, s[44:45]                           // sgprs -> exec
_v_add_co_u32 v82, vcc, v66, v72                   // addrVgpr = D + index*bytes (lo)
_v_addc_co_u32 v83, vcc, v67, v73, vcc             // addrVgpr = D + index*bytes (hi)
s_mov_b64 exec, -1                                 // full mask -1 -> exec
/* (d1,vc1,d0,vc0)=(13,0,0,0) */
_v_add_co_u32 v65, vcc, v65, 4                     // coord1.1: coord1Vgpr += d1*sg1*VW + vc1
GLOBAL_OFFSET_C 88, 64, 65, sgprWorkGroup2, 72
v_mov_b32 v72, v88                                 // temp store offset 0
v_mov_b32 v73, v89                                 // temp store offset 1
v_cmp_lt_u32 s[38:39], v64, s[sgprSizesFree+0]     // coord0 < size0
v_cmp_lt_u32 s[40:41], v65, s[sgprSizesFree+1]     // coord1 < size1
s_and_b64 s[46:47], s[38:39], s[40:41]             // in0 && in1
s_mov_b64 exec, s[46:47]                           // sgprs -> exec
_v_add_co_u32 v88, vcc, v68, v72                   // addrVgpr = C + index*bytes (lo)
_v_addc_co_u32 v89, vcc, v69, v73, vcc             // addrVgpr = C + index*bytes (hi)
_global_load_b64 v[90:91], v[88:89], off, offset:0,  sc0 sc1 // load C for beta calc
GLOBAL_OFFSET_D 88, 64, 65, sgprWorkGroup2, 72
v_mov_b32 v72, v88                                 // temp store offset 0
v_mov_b32 v73, v89                                 // temp store offset 1
v_cmp_lt_u32 s[38:39], v64, s[sgprSizesFree+0]     // coord0 < size0
v_cmp_lt_u32 s[40:41], v65, s[sgprSizesFree+1]     // coord1 < size1
s_and_b64 s[46:47], s[38:39], s[40:41]             // in0 && in1
s_mov_b64 exec, s[46:47]                           // sgprs -> exec
_v_add_co_u32 v88, vcc, v66, v72                   // addrVgpr = D + index*bytes (lo)
_v_addc_co_u32 v89, vcc, v67, v73, vcc             // addrVgpr = D + index*bytes (hi)
s_mov_b64 exec, -1                                 // full mask -1 -> exec
/* (d1,vc1,d0,vc0)=(13,0,0,1) */
_v_add_co_u32 v70, vcc, v64, 1                     // coord0.1: coord0 += d0*sg0*VW + vc0
GLOBAL_OFFSET_C 94, 70, 65, sgprWorkGroup2, 72
v_mov_b32 v72, v94                                 // temp store offset 0
v_mov_b32 v73, v95                                 // temp store offset 1
v_cmp_lt_u32 s[38:39], v70, s[sgprSizesFree+0]     // coord0 < size0
v_cmp_lt_u32 s[40:41], v65, s[sgprSizesFree+1]     // coord1 < size1
s_and_b64 s[48:49], s[38:39], s[40:41]             // in0 && in1
s_mov_b64 exec, s[48:49]                           // sgprs -> exec
_v_add_co_u32 v94, vcc, v68, v72                   // addrVgpr = C + index*bytes (lo)
_v_addc_co_u32 v95, vcc, v69, v73, vcc             // addrVgpr = C + index*bytes (hi)
_global_load_b64 v[96:97], v[94:95], off, offset:0,  sc0 sc1 // load C for beta calc
GLOBAL_OFFSET_D 94, 70, 65, sgprWorkGroup2, 72
v_mov_b32 v72, v94                                 // temp store offset 0
v_mov_b32 v73, v95                                 // temp store offset 1
v_cmp_lt_u32 s[38:39], v70, s[sgprSizesFree+0]     // coord0 < size0
v_cmp_lt_u32 s[40:41], v65, s[sgprSizesFree+1]     // coord1 < size1
s_and_b64 s[48:49], s[38:39], s[40:41]             // in0 && in1
s_mov_b64 exec, s[48:49]                           // sgprs -> exec
_v_add_co_u32 v94, vcc, v66, v72                   // addrVgpr = D + index*bytes (lo)
_v_addc_co_u32 v95, vcc, v67, v73, vcc             // addrVgpr = D + index*bytes (hi)
s_mov_b64 exec, -1                                 // full mask -1 -> exec
s_sleep 7 // optimization: sync and wait
s_barrier
s_waitcnt vmcnt(0)                                 // wait C

/* apply mask, calc new C and issue writes */
s_mov_b64 exec, s[42:43]                           // sgprs -> exec
v_fma_f64 v[vgprValuC+80:vgprValuC+80+1], v[78:79], s[sgprBeta:sgprBeta+1], v[vgprValuC+80:vgprValuC+80+1] // finalSum = sum*alpha + C*beta
_global_store_b64 v[76:77], v[80:81], off,  sc0 sc1 // store D
s_mov_b64 exec, s[44:45]                           // sgprs -> exec
v_fma_f64 v[vgprValuC+86:vgprValuC+86+1], v[84:85], s[sgprBeta:sgprBeta+1], v[vgprValuC+86:vgprValuC+86+1] // finalSum = sum*alpha + C*beta
_global_store_b64 v[82:83], v[86:87], off,  sc0 sc1 // store D
	;; [unrolled: 3-line block ×4, first 2 shown]
s_mov_b64 exec, -1                                 // full mask -> exec
s_nop 0                                            // 1 wait state required when next inst writes vgprs held by previous dwordx4 store inst
/* optSingleColVgpr=0 optSharedColVgpr=0 optSGPRUsage=None optSrdIncForRow=0 */
s_sleep 7 // optimization: sync and wait
s_barrier

/******************************************/
/* Global Write Alpha Beta Edge Batch #7 (d1,d0,vc1,vc0) = */
/*    (14,0,0,0:vw1); (14,0,0,1:vw1); (15,0,0,0:vw1); (15,0,0,1:vw1) */
/******************************************/

/* calc coords, apply mask, and issue loads (if necessary) */

/* rC *= alpha batchElements=[(14, 0, 0, 0), (14, 0, 0, 1), (15, 0, 0, 0), (15, 0, 0, 1)] */
v_mul_f64 v[vgprValuC+80:vgprValuC+80+1], s[sgprAlpha:sgprAlpha+1], v[vgprValuC+52:vgprValuC+52+1] // Multiply MI out reg with alpha
v_mul_f64 v[vgprValuC+86:vgprValuC+86+1], s[sgprAlpha:sgprAlpha+1], v[vgprValuC+60:vgprValuC+60+1] // Multiply MI out reg with alpha
	;; [unrolled: 1-line block ×4, first 2 shown]
/* (d1,vc1,d0,vc0)=(14,0,0,0) */
_v_add_co_u32 v65, vcc, v65, 4                     // coord1.1: coord1Vgpr += d1*sg1*VW + vc1
GLOBAL_OFFSET_C 76, 64, 65, sgprWorkGroup2, 72
v_mov_b32 v72, v76                                 // temp store offset 0
v_mov_b32 v73, v77                                 // temp store offset 1
v_cmp_lt_u32 s[38:39], v64, s[sgprSizesFree+0]     // coord0 < size0
v_cmp_lt_u32 s[40:41], v65, s[sgprSizesFree+1]     // coord1 < size1
s_and_b64 s[42:43], s[38:39], s[40:41]             // in0 && in1
s_mov_b64 exec, s[42:43]                           // sgprs -> exec
_v_add_co_u32 v76, vcc, v68, v72                   // addrVgpr = C + index*bytes (lo)
_v_addc_co_u32 v77, vcc, v69, v73, vcc             // addrVgpr = C + index*bytes (hi)
_global_load_b64 v[78:79], v[76:77], off, offset:0,  sc0 sc1 // load C for beta calc
GLOBAL_OFFSET_D 76, 64, 65, sgprWorkGroup2, 72
v_mov_b32 v72, v76                                 // temp store offset 0
v_mov_b32 v73, v77                                 // temp store offset 1
v_cmp_lt_u32 s[38:39], v64, s[sgprSizesFree+0]     // coord0 < size0
v_cmp_lt_u32 s[40:41], v65, s[sgprSizesFree+1]     // coord1 < size1
s_and_b64 s[42:43], s[38:39], s[40:41]             // in0 && in1
s_mov_b64 exec, s[42:43]                           // sgprs -> exec
_v_add_co_u32 v76, vcc, v66, v72                   // addrVgpr = D + index*bytes (lo)
_v_addc_co_u32 v77, vcc, v67, v73, vcc             // addrVgpr = D + index*bytes (hi)
s_mov_b64 exec, -1                                 // full mask -1 -> exec
/* (d1,vc1,d0,vc0)=(14,0,0,1) */
_v_add_co_u32 v70, vcc, v64, 1                     // coord0.1: coord0 += d0*sg0*VW + vc0
GLOBAL_OFFSET_C 82, 70, 65, sgprWorkGroup2, 72
v_mov_b32 v72, v82                                 // temp store offset 0
v_mov_b32 v73, v83                                 // temp store offset 1
v_cmp_lt_u32 s[38:39], v70, s[sgprSizesFree+0]     // coord0 < size0
v_cmp_lt_u32 s[40:41], v65, s[sgprSizesFree+1]     // coord1 < size1
s_and_b64 s[44:45], s[38:39], s[40:41]             // in0 && in1
s_mov_b64 exec, s[44:45]                           // sgprs -> exec
_v_add_co_u32 v82, vcc, v68, v72                   // addrVgpr = C + index*bytes (lo)
_v_addc_co_u32 v83, vcc, v69, v73, vcc             // addrVgpr = C + index*bytes (hi)
_global_load_b64 v[84:85], v[82:83], off, offset:0,  sc0 sc1 // load C for beta calc
GLOBAL_OFFSET_D 82, 70, 65, sgprWorkGroup2, 72
v_mov_b32 v72, v82                                 // temp store offset 0
v_mov_b32 v73, v83                                 // temp store offset 1
v_cmp_lt_u32 s[38:39], v70, s[sgprSizesFree+0]     // coord0 < size0
v_cmp_lt_u32 s[40:41], v65, s[sgprSizesFree+1]     // coord1 < size1
s_and_b64 s[44:45], s[38:39], s[40:41]             // in0 && in1
s_mov_b64 exec, s[44:45]                           // sgprs -> exec
_v_add_co_u32 v82, vcc, v66, v72                   // addrVgpr = D + index*bytes (lo)
_v_addc_co_u32 v83, vcc, v67, v73, vcc             // addrVgpr = D + index*bytes (hi)
s_mov_b64 exec, -1                                 // full mask -1 -> exec
/* (d1,vc1,d0,vc0)=(15,0,0,0) */
_v_add_co_u32 v65, vcc, v65, 4                     // coord1.1: coord1Vgpr += d1*sg1*VW + vc1
GLOBAL_OFFSET_C 88, 64, 65, sgprWorkGroup2, 72
v_mov_b32 v72, v88                                 // temp store offset 0
v_mov_b32 v73, v89                                 // temp store offset 1
v_cmp_lt_u32 s[38:39], v64, s[sgprSizesFree+0]     // coord0 < size0
v_cmp_lt_u32 s[40:41], v65, s[sgprSizesFree+1]     // coord1 < size1
s_and_b64 s[46:47], s[38:39], s[40:41]             // in0 && in1
s_mov_b64 exec, s[46:47]                           // sgprs -> exec
_v_add_co_u32 v88, vcc, v68, v72                   // addrVgpr = C + index*bytes (lo)
_v_addc_co_u32 v89, vcc, v69, v73, vcc             // addrVgpr = C + index*bytes (hi)
_global_load_b64 v[90:91], v[88:89], off, offset:0,  sc0 sc1 // load C for beta calc
GLOBAL_OFFSET_D 88, 64, 65, sgprWorkGroup2, 72
v_mov_b32 v72, v88                                 // temp store offset 0
v_mov_b32 v73, v89                                 // temp store offset 1
v_cmp_lt_u32 s[38:39], v64, s[sgprSizesFree+0]     // coord0 < size0
v_cmp_lt_u32 s[40:41], v65, s[sgprSizesFree+1]     // coord1 < size1
s_and_b64 s[46:47], s[38:39], s[40:41]             // in0 && in1
s_mov_b64 exec, s[46:47]                           // sgprs -> exec
_v_add_co_u32 v88, vcc, v66, v72                   // addrVgpr = D + index*bytes (lo)
_v_addc_co_u32 v89, vcc, v67, v73, vcc             // addrVgpr = D + index*bytes (hi)
s_mov_b64 exec, -1                                 // full mask -1 -> exec
/* (d1,vc1,d0,vc0)=(15,0,0,1) */
_v_add_co_u32 v70, vcc, v64, 1                     // coord0.1: coord0 += d0*sg0*VW + vc0
GLOBAL_OFFSET_C 94, 70, 65, sgprWorkGroup2, 72
v_mov_b32 v72, v94                                 // temp store offset 0
v_mov_b32 v73, v95                                 // temp store offset 1
v_cmp_lt_u32 s[38:39], v70, s[sgprSizesFree+0]     // coord0 < size0
v_cmp_lt_u32 s[40:41], v65, s[sgprSizesFree+1]     // coord1 < size1
s_and_b64 s[48:49], s[38:39], s[40:41]             // in0 && in1
s_mov_b64 exec, s[48:49]                           // sgprs -> exec
_v_add_co_u32 v94, vcc, v68, v72                   // addrVgpr = C + index*bytes (lo)
_v_addc_co_u32 v95, vcc, v69, v73, vcc             // addrVgpr = C + index*bytes (hi)
_global_load_b64 v[96:97], v[94:95], off, offset:0,  sc0 sc1 // load C for beta calc
GLOBAL_OFFSET_D 94, 70, 65, sgprWorkGroup2, 72
v_mov_b32 v72, v94                                 // temp store offset 0
v_mov_b32 v73, v95                                 // temp store offset 1
v_cmp_lt_u32 s[38:39], v70, s[sgprSizesFree+0]     // coord0 < size0
v_cmp_lt_u32 s[40:41], v65, s[sgprSizesFree+1]     // coord1 < size1
s_and_b64 s[48:49], s[38:39], s[40:41]             // in0 && in1
s_mov_b64 exec, s[48:49]                           // sgprs -> exec
_v_add_co_u32 v94, vcc, v66, v72                   // addrVgpr = D + index*bytes (lo)
_v_addc_co_u32 v95, vcc, v67, v73, vcc             // addrVgpr = D + index*bytes (hi)
s_mov_b64 exec, -1                                 // full mask -1 -> exec
s_sleep 7 // optimization: sync and wait
s_barrier
s_waitcnt vmcnt(0)                                 // wait C

/* apply mask, calc new C and issue writes */
s_mov_b64 exec, s[42:43]                           // sgprs -> exec
v_fma_f64 v[vgprValuC+80:vgprValuC+80+1], v[78:79], s[sgprBeta:sgprBeta+1], v[vgprValuC+80:vgprValuC+80+1] // finalSum = sum*alpha + C*beta
_global_store_b64 v[76:77], v[80:81], off,  sc0 sc1 // store D
s_mov_b64 exec, s[44:45]                           // sgprs -> exec
v_fma_f64 v[vgprValuC+86:vgprValuC+86+1], v[84:85], s[sgprBeta:sgprBeta+1], v[vgprValuC+86:vgprValuC+86+1] // finalSum = sum*alpha + C*beta
_global_store_b64 v[82:83], v[86:87], off,  sc0 sc1 // store D
	;; [unrolled: 3-line block ×4, first 2 shown]
s_mov_b64 exec, -1                                 // full mask -> exec
s_nop 0                                            // 1 wait state required when next inst writes vgprs held by previous dwordx4 store inst
s_branch label_GW_End_109                          // jump to end
label_GW_End_109:

label_0114:  /// KernelEnd
s_endpgm                                           // Kernel End

